;; amdgpu-corpus repo=ROCm/rocFFT kind=compiled arch=gfx950 opt=O3
	.text
	.amdgcn_target "amdgcn-amd-amdhsa--gfx950"
	.amdhsa_code_object_version 6
	.protected	fft_rtc_back_len1620_factors_10_3_3_6_3_wgs_162_tpt_162_halfLds_sp_op_CI_CI_unitstride_sbrr_R2C_dirReg ; -- Begin function fft_rtc_back_len1620_factors_10_3_3_6_3_wgs_162_tpt_162_halfLds_sp_op_CI_CI_unitstride_sbrr_R2C_dirReg
	.globl	fft_rtc_back_len1620_factors_10_3_3_6_3_wgs_162_tpt_162_halfLds_sp_op_CI_CI_unitstride_sbrr_R2C_dirReg
	.p2align	8
	.type	fft_rtc_back_len1620_factors_10_3_3_6_3_wgs_162_tpt_162_halfLds_sp_op_CI_CI_unitstride_sbrr_R2C_dirReg,@function
fft_rtc_back_len1620_factors_10_3_3_6_3_wgs_162_tpt_162_halfLds_sp_op_CI_CI_unitstride_sbrr_R2C_dirReg: ; @fft_rtc_back_len1620_factors_10_3_3_6_3_wgs_162_tpt_162_halfLds_sp_op_CI_CI_unitstride_sbrr_R2C_dirReg
; %bb.0:
	s_load_dwordx4 s[4:7], s[0:1], 0x58
	s_load_dwordx4 s[8:11], s[0:1], 0x0
	;; [unrolled: 1-line block ×3, first 2 shown]
	v_mul_u32_u24_e32 v1, 0x195, v0
	v_add_u32_sdwa v6, s2, v1 dst_sel:DWORD dst_unused:UNUSED_PAD src0_sel:DWORD src1_sel:WORD_1
	v_mov_b32_e32 v4, 0
	s_waitcnt lgkmcnt(0)
	v_cmp_lt_u64_e64 s[2:3], s[10:11], 2
	v_mov_b32_e32 v7, v4
	s_and_b64 vcc, exec, s[2:3]
	v_mov_b64_e32 v[2:3], 0
	s_cbranch_vccnz .LBB0_8
; %bb.1:
	s_load_dwordx2 s[2:3], s[0:1], 0x10
	s_add_u32 s16, s14, 8
	s_addc_u32 s17, s15, 0
	s_add_u32 s18, s12, 8
	s_addc_u32 s19, s13, 0
	s_waitcnt lgkmcnt(0)
	s_add_u32 s20, s2, 8
	v_mov_b64_e32 v[2:3], 0
	s_addc_u32 s21, s3, 0
	s_mov_b64 s[22:23], 1
	v_mov_b64_e32 v[12:13], v[2:3]
.LBB0_2:                                ; =>This Inner Loop Header: Depth=1
	s_load_dwordx2 s[24:25], s[20:21], 0x0
                                        ; implicit-def: $vgpr14_vgpr15
	s_waitcnt lgkmcnt(0)
	v_or_b32_e32 v5, s25, v7
	v_cmp_ne_u64_e32 vcc, 0, v[4:5]
	s_and_saveexec_b64 s[2:3], vcc
	s_xor_b64 s[26:27], exec, s[2:3]
	s_cbranch_execz .LBB0_4
; %bb.3:                                ;   in Loop: Header=BB0_2 Depth=1
	v_cvt_f32_u32_e32 v1, s24
	v_cvt_f32_u32_e32 v5, s25
	s_sub_u32 s2, 0, s24
	s_subb_u32 s3, 0, s25
	v_fmac_f32_e32 v1, 0x4f800000, v5
	v_rcp_f32_e32 v1, v1
	s_nop 0
	v_mul_f32_e32 v1, 0x5f7ffffc, v1
	v_mul_f32_e32 v5, 0x2f800000, v1
	v_trunc_f32_e32 v5, v5
	v_fmac_f32_e32 v1, 0xcf800000, v5
	v_cvt_u32_f32_e32 v5, v5
	v_cvt_u32_f32_e32 v1, v1
	v_mul_lo_u32 v8, s2, v5
	v_mul_hi_u32 v10, s2, v1
	v_mul_lo_u32 v9, s3, v1
	v_add_u32_e32 v10, v10, v8
	v_mul_lo_u32 v14, s2, v1
	v_add_u32_e32 v15, v10, v9
	v_mul_hi_u32 v8, v1, v14
	v_mul_hi_u32 v11, v1, v15
	v_mul_lo_u32 v10, v1, v15
	v_mov_b32_e32 v9, v4
	v_lshl_add_u64 v[8:9], v[8:9], 0, v[10:11]
	v_mul_hi_u32 v11, v5, v14
	v_mul_lo_u32 v14, v5, v14
	v_add_co_u32_e32 v8, vcc, v8, v14
	v_mul_hi_u32 v10, v5, v15
	s_nop 0
	v_addc_co_u32_e32 v8, vcc, v9, v11, vcc
	v_mov_b32_e32 v9, v4
	s_nop 0
	v_addc_co_u32_e32 v11, vcc, 0, v10, vcc
	v_mul_lo_u32 v10, v5, v15
	v_lshl_add_u64 v[8:9], v[8:9], 0, v[10:11]
	v_add_co_u32_e32 v1, vcc, v1, v8
	v_mul_lo_u32 v10, s2, v1
	s_nop 0
	v_addc_co_u32_e32 v5, vcc, v5, v9, vcc
	v_mul_lo_u32 v8, s2, v5
	v_mul_hi_u32 v9, s2, v1
	v_add_u32_e32 v8, v9, v8
	v_mul_lo_u32 v9, s3, v1
	v_add_u32_e32 v14, v8, v9
	v_mul_hi_u32 v16, v5, v10
	v_mul_lo_u32 v17, v5, v10
	v_mul_hi_u32 v9, v1, v14
	v_mul_lo_u32 v8, v1, v14
	v_mul_hi_u32 v10, v1, v10
	v_mov_b32_e32 v11, v4
	v_lshl_add_u64 v[8:9], v[10:11], 0, v[8:9]
	v_add_co_u32_e32 v8, vcc, v8, v17
	v_mul_hi_u32 v15, v5, v14
	s_nop 0
	v_addc_co_u32_e32 v8, vcc, v9, v16, vcc
	v_mul_lo_u32 v10, v5, v14
	s_nop 0
	v_addc_co_u32_e32 v11, vcc, 0, v15, vcc
	v_mov_b32_e32 v9, v4
	v_lshl_add_u64 v[8:9], v[8:9], 0, v[10:11]
	v_add_co_u32_e32 v1, vcc, v1, v8
	v_mul_hi_u32 v10, v6, v1
	s_nop 0
	v_addc_co_u32_e32 v5, vcc, v5, v9, vcc
	v_mad_u64_u32 v[8:9], s[2:3], v6, v5, 0
	v_mov_b32_e32 v11, v4
	v_lshl_add_u64 v[8:9], v[10:11], 0, v[8:9]
	v_mad_u64_u32 v[14:15], s[2:3], v7, v1, 0
	v_add_co_u32_e32 v1, vcc, v8, v14
	v_mad_u64_u32 v[10:11], s[2:3], v7, v5, 0
	s_nop 0
	v_addc_co_u32_e32 v8, vcc, v9, v15, vcc
	v_mov_b32_e32 v9, v4
	s_nop 0
	v_addc_co_u32_e32 v11, vcc, 0, v11, vcc
	v_lshl_add_u64 v[8:9], v[8:9], 0, v[10:11]
	v_mul_lo_u32 v1, s25, v8
	v_mul_lo_u32 v5, s24, v9
	v_mad_u64_u32 v[10:11], s[2:3], s24, v8, 0
	v_add3_u32 v1, v11, v5, v1
	v_sub_u32_e32 v5, v7, v1
	v_mov_b32_e32 v11, s25
	v_sub_co_u32_e32 v16, vcc, v6, v10
	v_lshl_add_u64 v[14:15], v[8:9], 0, 1
	s_nop 0
	v_subb_co_u32_e64 v5, s[2:3], v5, v11, vcc
	v_subrev_co_u32_e64 v10, s[2:3], s24, v16
	v_subb_co_u32_e32 v1, vcc, v7, v1, vcc
	s_nop 0
	v_subbrev_co_u32_e64 v5, s[2:3], 0, v5, s[2:3]
	v_cmp_le_u32_e64 s[2:3], s25, v5
	v_cmp_le_u32_e32 vcc, s25, v1
	s_nop 0
	v_cndmask_b32_e64 v11, 0, -1, s[2:3]
	v_cmp_le_u32_e64 s[2:3], s24, v10
	s_nop 1
	v_cndmask_b32_e64 v10, 0, -1, s[2:3]
	v_cmp_eq_u32_e64 s[2:3], s25, v5
	s_nop 1
	v_cndmask_b32_e64 v5, v11, v10, s[2:3]
	v_lshl_add_u64 v[10:11], v[8:9], 0, 2
	v_cmp_ne_u32_e64 s[2:3], 0, v5
	s_nop 1
	v_cndmask_b32_e64 v5, v15, v11, s[2:3]
	v_cndmask_b32_e64 v11, 0, -1, vcc
	v_cmp_le_u32_e32 vcc, s24, v16
	s_nop 1
	v_cndmask_b32_e64 v15, 0, -1, vcc
	v_cmp_eq_u32_e32 vcc, s25, v1
	s_nop 1
	v_cndmask_b32_e32 v1, v11, v15, vcc
	v_cmp_ne_u32_e32 vcc, 0, v1
	v_cndmask_b32_e64 v1, v14, v10, s[2:3]
	s_nop 0
	v_cndmask_b32_e32 v15, v9, v5, vcc
	v_cndmask_b32_e32 v14, v8, v1, vcc
.LBB0_4:                                ;   in Loop: Header=BB0_2 Depth=1
	s_andn2_saveexec_b64 s[2:3], s[26:27]
	s_cbranch_execz .LBB0_6
; %bb.5:                                ;   in Loop: Header=BB0_2 Depth=1
	v_cvt_f32_u32_e32 v1, s24
	s_sub_i32 s26, 0, s24
	v_mov_b32_e32 v15, v4
	v_rcp_iflag_f32_e32 v1, v1
	s_nop 0
	v_mul_f32_e32 v1, 0x4f7ffffe, v1
	v_cvt_u32_f32_e32 v1, v1
	v_mul_lo_u32 v5, s26, v1
	v_mul_hi_u32 v5, v1, v5
	v_add_u32_e32 v1, v1, v5
	v_mul_hi_u32 v1, v6, v1
	v_mul_lo_u32 v5, v1, s24
	v_sub_u32_e32 v5, v6, v5
	v_add_u32_e32 v8, 1, v1
	v_subrev_u32_e32 v9, s24, v5
	v_cmp_le_u32_e32 vcc, s24, v5
	s_nop 1
	v_cndmask_b32_e32 v5, v5, v9, vcc
	v_cndmask_b32_e32 v1, v1, v8, vcc
	v_add_u32_e32 v8, 1, v1
	v_cmp_le_u32_e32 vcc, s24, v5
	s_nop 1
	v_cndmask_b32_e32 v14, v1, v8, vcc
.LBB0_6:                                ;   in Loop: Header=BB0_2 Depth=1
	s_or_b64 exec, exec, s[2:3]
	v_mad_u64_u32 v[8:9], s[2:3], v14, s24, 0
	s_load_dwordx2 s[2:3], s[18:19], 0x0
	v_mul_lo_u32 v1, v15, s24
	v_mul_lo_u32 v5, v14, s25
	s_load_dwordx2 s[24:25], s[16:17], 0x0
	s_add_u32 s22, s22, 1
	v_add3_u32 v1, v9, v5, v1
	v_sub_co_u32_e32 v5, vcc, v6, v8
	s_addc_u32 s23, s23, 0
	s_nop 0
	v_subb_co_u32_e32 v1, vcc, v7, v1, vcc
	s_add_u32 s16, s16, 8
	s_waitcnt lgkmcnt(0)
	v_mul_lo_u32 v6, s2, v1
	v_mul_lo_u32 v7, s3, v5
	v_mad_u64_u32 v[2:3], s[2:3], s2, v5, v[2:3]
	s_addc_u32 s17, s17, 0
	v_add3_u32 v3, v7, v3, v6
	v_mul_lo_u32 v1, s24, v1
	v_mul_lo_u32 v6, s25, v5
	v_mad_u64_u32 v[12:13], s[2:3], s24, v5, v[12:13]
	s_add_u32 s18, s18, 8
	v_add3_u32 v13, v6, v13, v1
	s_addc_u32 s19, s19, 0
	v_mov_b64_e32 v[6:7], s[10:11]
	s_add_u32 s20, s20, 8
	v_cmp_ge_u64_e32 vcc, s[22:23], v[6:7]
	s_addc_u32 s21, s21, 0
	s_cbranch_vccnz .LBB0_9
; %bb.7:                                ;   in Loop: Header=BB0_2 Depth=1
	v_mov_b64_e32 v[6:7], v[14:15]
	s_branch .LBB0_2
.LBB0_8:
	v_mov_b64_e32 v[12:13], v[2:3]
	v_mov_b64_e32 v[14:15], v[6:7]
.LBB0_9:
	s_load_dwordx2 s[18:19], s[0:1], 0x28
	s_lshl_b64 s[16:17], s[10:11], 3
	s_add_u32 s2, s14, s16
	s_addc_u32 s3, s15, s17
                                        ; implicit-def: $vgpr16
                                        ; implicit-def: $vgpr18
                                        ; implicit-def: $vgpr22
                                        ; implicit-def: $vgpr20
	s_waitcnt lgkmcnt(0)
	v_cmp_gt_u64_e64 s[0:1], s[18:19], v[14:15]
	v_cmp_le_u64_e32 vcc, s[18:19], v[14:15]
	s_and_saveexec_b64 s[10:11], vcc
	s_xor_b64 s[10:11], exec, s[10:11]
; %bb.10:
	s_mov_b32 s14, 0x1948b10
	v_mul_hi_u32 v1, v0, s14
	v_mul_u32_u24_e32 v1, 0xa2, v1
	v_sub_u32_e32 v16, v0, v1
	v_add_u32_e32 v18, 0xa2, v16
	v_add_u32_e32 v22, 0x144, v16
	;; [unrolled: 1-line block ×3, first 2 shown]
                                        ; implicit-def: $vgpr0
                                        ; implicit-def: $vgpr2_vgpr3
; %bb.11:
	s_andn2_saveexec_b64 s[10:11], s[10:11]
	s_cbranch_execz .LBB0_13
; %bb.12:
	s_add_u32 s12, s12, s16
	s_addc_u32 s13, s13, s17
	s_load_dwordx2 s[12:13], s[12:13], 0x0
	s_mov_b32 s14, 0x1948b10
	s_waitcnt lgkmcnt(0)
	v_mul_lo_u32 v1, s13, v14
	v_mul_lo_u32 v6, s12, v15
	v_mad_u64_u32 v[4:5], s[12:13], s12, v14, 0
	v_add3_u32 v5, v5, v6, v1
	v_mul_hi_u32 v1, v0, s14
	v_mul_u32_u24_e32 v1, 0xa2, v1
	v_sub_u32_e32 v16, v0, v1
	v_lshl_add_u64 v[0:1], v[4:5], 3, s[4:5]
	v_lshl_add_u64 v[0:1], v[2:3], 3, v[0:1]
	v_lshlrev_b32_e32 v2, 3, v16
	v_mov_b32_e32 v3, 0
	v_lshl_add_u64 v[0:1], v[0:1], 0, v[2:3]
	s_movk_i32 s4, 0x1000
	v_add_co_u32_e32 v18, vcc, s4, v0
	global_load_dwordx2 v[4:5], v[0:1], off
	global_load_dwordx2 v[6:7], v[0:1], off offset:1296
	global_load_dwordx2 v[8:9], v[0:1], off offset:2592
	;; [unrolled: 1-line block ×3, first 2 shown]
	v_addc_co_u32_e32 v19, vcc, 0, v1, vcc
	v_add_co_u32_e32 v0, vcc, 0x2000, v0
	v_add_u32_e32 v22, 0x144, v16
	s_nop 0
	v_addc_co_u32_e32 v1, vcc, 0, v1, vcc
	global_load_dwordx2 v[24:25], v[18:19], off offset:1088
	global_load_dwordx2 v[26:27], v[18:19], off offset:2384
	;; [unrolled: 1-line block ×6, first 2 shown]
	v_add_u32_e32 v18, 0xa2, v16
	v_add_u32_e32 v20, 0x1e6, v16
	;; [unrolled: 1-line block ×7, first 2 shown]
	s_waitcnt vmcnt(8)
	ds_write2_b64 v0, v[4:5], v[6:7] offset1:162
	s_waitcnt vmcnt(6)
	ds_write2_b64 v1, v[8:9], v[10:11] offset0:68 offset1:230
	s_waitcnt vmcnt(4)
	ds_write2_b64 v2, v[24:25], v[26:27] offset0:8 offset1:170
	;; [unrolled: 2-line block ×4, first 2 shown]
.LBB0_13:
	s_or_b64 exec, exec, s[10:11]
	v_lshl_add_u32 v39, v16, 3, 0
	v_add_u32_e32 v17, 0x1c00, v39
	s_load_dwordx2 s[10:11], s[2:3], 0x0
	s_waitcnt lgkmcnt(0)
	s_barrier
	v_add_u32_e32 v4, 0x800, v39
	v_add_u32_e32 v8, 0x1400, v39
	ds_read2_b64 v[24:27], v17 offset0:76 offset1:238
	v_add_u32_e32 v17, 0x2800, v39
	ds_read2_b64 v[4:7], v4 offset0:68 offset1:230
	ds_read2_b64 v[8:11], v8 offset0:8 offset1:170
	;; [unrolled: 1-line block ×3, first 2 shown]
	ds_read2_b64 v[0:3], v39 offset1:162
	s_waitcnt lgkmcnt(4)
	v_mov_b32_e32 v41, v26
	s_waitcnt lgkmcnt(3)
	v_mov_b32_e32 v42, v6
	;; [unrolled: 2-line block ×4, first 2 shown]
	v_pk_add_f32 v[48:49], v[4:5], v[8:9] neg_lo:[0,1] neg_hi:[0,1]
	v_pk_add_f32 v[50:51], v[28:29], v[24:25] neg_lo:[0,1] neg_hi:[0,1]
	v_pk_add_f32 v[36:37], v[6:7], v[30:31]
	v_pk_add_f32 v[40:41], v[40:41], v[42:43] neg_lo:[0,1] neg_hi:[0,1]
	s_waitcnt lgkmcnt(0)
	v_pk_add_f32 v[42:43], v[2:3], v[6:7]
	v_pk_add_f32 v[48:49], v[48:49], v[50:51]
	;; [unrolled: 1-line block ×3, first 2 shown]
	v_fma_f32 v19, -0.5, v36, v2
	v_mov_b32_e32 v36, v41
	v_pk_add_f32 v[42:43], v[42:43], v[10:11]
	v_fma_f32 v21, -0.5, v37, v3
	v_pk_fma_f32 v[2:3], v[50:51], 0.5, v[2:3] op_sel_hi:[1,0,1] neg_lo:[1,0,0] neg_hi:[1,0,0]
	v_pk_add_f32 v[50:51], v[6:7], v[30:31] neg_lo:[0,1] neg_hi:[0,1]
	s_mov_b32 s4, 0x3f737871
	v_pk_add_f32 v[40:41], v[40:41], v[36:37]
	v_pk_add_f32 v[42:43], v[42:43], v[26:27]
	v_mov_b32_e32 v36, v11
	v_mov_b32_e32 v44, v7
	s_mov_b32 s12, 0x3f167918
	v_pk_mul_f32 v[52:53], v[50:51], s[4:5] op_sel_hi:[1,0]
	v_pk_add_f32 v[6:7], v[6:7], v[10:11] neg_lo:[0,1] neg_hi:[0,1]
	v_pk_add_f32 v[10:11], v[10:11], v[26:27] neg_lo:[0,1] neg_hi:[0,1]
	s_movk_i32 s2, 0x48
	v_pk_add_f32 v[42:43], v[42:43], v[30:31]
	v_mov_b32_e32 v37, v27
	v_mov_b32_e32 v45, v31
	v_pk_add_f32 v[54:55], v[2:3], v[52:53] op_sel:[0,1] op_sel_hi:[1,0]
	v_pk_add_f32 v[30:31], v[30:31], v[26:27] neg_lo:[0,1] neg_hi:[0,1]
	v_pk_add_f32 v[2:3], v[2:3], v[52:53] op_sel:[0,1] op_sel_hi:[1,0] neg_lo:[0,1] neg_hi:[0,1]
	v_pk_mul_f32 v[26:27], v[10:11], s[12:13] op_sel_hi:[1,0]
	v_mad_u32_u24 v17, v16, s2, v39
	v_pk_add_f32 v[36:37], v[36:37], v[44:45] neg_lo:[0,1] neg_hi:[0,1]
	s_mov_b32 s2, 0x3e9e377a
	v_pk_add_f32 v[6:7], v[6:7], v[30:31]
	v_pk_add_f32 v[30:31], v[26:27], v[54:55] op_sel:[1,0] op_sel_hi:[0,1]
	v_pk_add_f32 v[2:3], v[2:3], v[26:27] op_sel:[0,1] op_sel_hi:[1,0] neg_lo:[0,1] neg_hi:[0,1]
	v_mov_b32_e32 v38, v37
	v_pk_fma_f32 v[26:27], v[6:7], s[2:3], v[30:31] op_sel_hi:[1,0,1]
	s_mov_b32 s3, s12
	v_mov_b32_e32 v30, v2
	v_mov_b32_e32 v41, v51
	v_pk_add_f32 v[36:37], v[36:37], v[38:39]
	v_pk_fma_f32 v[30:31], v[6:7], s[2:3], v[30:31] op_sel_hi:[1,0,1]
	v_pk_fma_f32 v[2:3], v[6:7], s[2:3], v[2:3] op_sel_hi:[1,0,1]
	v_fmamk_f32 v23, v11, 0x3f737871, v19
	v_pk_mul_f32 v[6:7], v[40:41], s[2:3]
	v_fmac_f32_e32 v19, 0xbf737871, v11
	v_sub_f32_e32 v23, v23, v7
	v_add_f32_e32 v7, v7, v19
	v_mov_b32_e32 v37, v50
	v_add_f32_e32 v38, v6, v23
	v_add_f32_e32 v6, v6, v7
	v_fmamk_f32 v7, v10, 0xbf737871, v21
	v_pk_mul_f32 v[36:37], v[36:37], s[2:3]
	v_fmac_f32_e32 v21, 0x3f737871, v10
	v_add_f32_e32 v7, v37, v7
	v_add_f32_e32 v40, v36, v7
	v_sub_f32_e32 v7, v21, v37
	v_add_f32_e32 v10, v36, v7
	v_pk_mul_f32 v[36:37], v[30:31], s[12:13] op_sel_hi:[1,0]
	s_mov_b32 s14, 0x3f4f1bbd
	v_pk_fma_f32 v[50:51], v[30:31], s[14:15], v[36:37] op_sel:[0,0,1] op_sel_hi:[1,0,0] neg_lo:[0,0,1] neg_hi:[0,0,1]
	v_pk_fma_f32 v[30:31], v[30:31], s[14:15], v[36:37] op_sel:[0,0,1] op_sel_hi:[1,0,0]
	s_mov_b32 s14, 0xbf4f1bbd
	s_mov_b32 s16, 0xbf167918
	;; [unrolled: 1-line block ×3, first 2 shown]
	v_pk_add_f32 v[32:33], v[0:1], v[4:5]
	s_mov_b32 s15, s12
	v_pk_mul_f32 v[2:3], v[2:3], s[16:17] op_sel:[1,0]
	v_pk_add_f32 v[32:33], v[32:33], v[8:9]
	v_pk_add_f32 v[34:35], v[8:9], v[24:25]
	v_pk_add_f32 v[46:47], v[8:9], v[24:25] neg_lo:[0,1] neg_hi:[0,1]
	v_mov_b32_e32 v51, v31
	v_pk_fma_f32 v[2:3], v[26:27], s[14:15], v[2:3] op_sel_hi:[0,1,1]
	v_pk_add_f32 v[26:27], v[4:5], v[28:29] neg_lo:[0,1] neg_hi:[0,1]
	v_pk_add_f32 v[30:31], v[4:5], v[28:29]
	v_pk_add_f32 v[4:5], v[8:9], v[4:5] neg_lo:[0,1] neg_hi:[0,1]
	v_pk_add_f32 v[8:9], v[24:25], v[28:29] neg_lo:[0,1] neg_hi:[0,1]
	v_pk_add_f32 v[32:33], v[32:33], v[24:25]
	v_pk_fma_f32 v[34:35], v[34:35], 0.5, v[0:1] op_sel_hi:[1,0,1] neg_lo:[1,0,0] neg_hi:[1,0,0]
	v_pk_fma_f32 v[0:1], v[30:31], 0.5, v[0:1] op_sel_hi:[1,0,1] neg_lo:[1,0,0] neg_hi:[1,0,0]
	v_pk_add_f32 v[4:5], v[4:5], v[8:9]
	v_pk_mul_f32 v[8:9], v[26:27], s[4:5] op_sel_hi:[1,0]
	v_pk_add_f32 v[32:33], v[32:33], v[28:29]
	v_pk_mul_f32 v[30:31], v[26:27], s[12:13] op_sel_hi:[1,0]
	v_pk_add_f32 v[24:25], v[34:35], v[8:9] op_sel:[0,1] op_sel_hi:[1,0]
	v_pk_add_f32 v[8:9], v[34:35], v[8:9] op_sel:[0,1] op_sel_hi:[1,0] neg_lo:[0,1] neg_hi:[0,1]
	v_pk_fma_f32 v[28:29], v[46:47], s[4:5], v[0:1] op_sel:[1,0,0] op_sel_hi:[0,0,1]
	v_pk_fma_f32 v[0:1], v[46:47], s[4:5], v[0:1] op_sel:[1,0,0] op_sel_hi:[0,0,1] neg_lo:[1,0,0] neg_hi:[1,0,0]
	v_pk_fma_f32 v[8:9], v[46:47], s[12:13], v[8:9] op_sel:[1,0,0] op_sel_hi:[0,0,1] neg_lo:[1,0,0] neg_hi:[1,0,0]
	v_pk_fma_f32 v[24:25], v[46:47], s[12:13], v[24:25] op_sel:[1,0,0] op_sel_hi:[0,0,1]
	v_pk_add_f32 v[0:1], v[0:1], v[30:31] op_sel:[0,1] op_sel_hi:[1,0]
	v_pk_add_f32 v[28:29], v[28:29], v[30:31] op_sel:[0,1] op_sel_hi:[1,0] neg_lo:[0,1] neg_hi:[0,1]
	v_mov_b32_e32 v26, v24
	v_mov_b32_e32 v27, v9
	v_mov_b32_e32 v30, v28
	v_mov_b32_e32 v31, v1
	s_mov_b32 s5, s2
	v_pk_fma_f32 v[26:27], v[48:49], s[2:3], v[26:27] op_sel_hi:[1,0,1]
	v_pk_fma_f32 v[30:31], v[4:5], s[2:3], v[30:31] op_sel_hi:[1,0,1]
	s_mov_b32 s3, s4
	v_pk_mul_f32 v[34:35], v[40:41], s[4:5] op_sel_hi:[0,1]
	v_pk_fma_f32 v[36:37], v[38:39], s[2:3], v[34:35] neg_lo:[0,0,1] neg_hi:[0,0,1]
	v_pk_fma_f32 v[34:35], v[38:39], s[2:3], v[34:35] op_sel_hi:[0,1,1]
	s_mov_b32 s12, 0xbe9e377a
	s_mov_b32 s13, s4
	v_pk_mul_f32 v[10:11], v[10:11], s[4:5] op_sel_hi:[0,1]
	v_mov_b32_e32 v1, v29
	v_mov_b32_e32 v37, v35
	v_pk_fma_f32 v[6:7], v[6:7], s[12:13], v[10:11] op_sel_hi:[0,1,1] neg_lo:[0,0,1] neg_hi:[0,0,1]
	v_pk_fma_f32 v[0:1], v[4:5], s[2:3], v[0:1] op_sel_hi:[1,0,1]
	v_mov_b32_e32 v9, v25
	v_pk_add_f32 v[40:41], v[30:31], v[36:37]
	v_pk_add_f32 v[4:5], v[0:1], v[6:7]
	s_barrier
	v_pk_fma_f32 v[8:9], v[48:49], s[2:3], v[8:9] op_sel_hi:[1,0,1]
	v_pk_add_f32 v[24:25], v[26:27], v[2:3] neg_lo:[0,1] neg_hi:[0,1]
	ds_write2_b64 v17, v[40:41], v[4:5] offset0:2 offset1:3
	v_pk_add_f32 v[2:3], v[26:27], v[2:3]
	v_pk_add_f32 v[4:5], v[32:33], v[42:43] neg_lo:[0,1] neg_hi:[0,1]
	v_pk_add_f32 v[0:1], v[0:1], v[6:7] neg_lo:[0,1] neg_hi:[0,1]
	v_pk_add_f32 v[44:45], v[32:33], v[42:43]
	v_pk_add_f32 v[34:35], v[8:9], v[50:51]
	ds_write2_b64 v17, v[2:3], v[4:5] offset0:4 offset1:5
	v_pk_add_f32 v[2:3], v[8:9], v[50:51] neg_lo:[0,1] neg_hi:[0,1]
	v_pk_add_f32 v[4:5], v[30:31], v[36:37] neg_lo:[0,1] neg_hi:[0,1]
	ds_write2_b64 v17, v[0:1], v[24:25] offset0:8 offset1:9
	v_add_u32_e32 v0, 0x1000, v39
	ds_write2_b64 v17, v[44:45], v[34:35] offset1:1
	ds_write2_b64 v17, v[2:3], v[4:5] offset0:6 offset1:7
	s_waitcnt lgkmcnt(0)
	s_barrier
	ds_read2_b64 v[4:7], v0 offset0:28 offset1:190
	v_add_u32_e32 v0, 0x1a00, v39
	v_add_u32_e32 v8, 0x2400, v39
	ds_read2_b64 v[0:3], v0 offset0:32 offset1:248
	v_lshl_add_u32 v42, v18, 3, 0
	ds_read2_b64 v[8:11], v8 offset0:90 offset1:252
	v_lshl_add_u32 v41, v22, 3, 0
	ds_read_b64 v[28:29], v39
	ds_read_b64 v[34:35], v42
	;; [unrolled: 1-line block ×3, first 2 shown]
	v_cmp_gt_u32_e64 s[2:3], 54, v16
	v_lshl_add_u32 v40, v20, 3, 0
                                        ; implicit-def: $vgpr36
                                        ; implicit-def: $vgpr26
                                        ; implicit-def: $vgpr32
                                        ; implicit-def: $vgpr38
	s_and_saveexec_b64 s[4:5], s[2:3]
	s_cbranch_execz .LBB0_15
; %bb.14:
	ds_read_b64 v[26:27], v39 offset:8208
	ds_read_b64 v[32:33], v39 offset:12528
	ds_read_b64 v[24:25], v40
	s_waitcnt lgkmcnt(2)
	v_mov_b32_e32 v36, v27
	s_waitcnt lgkmcnt(1)
	v_mov_b32_e32 v38, v33
.LBB0_15:
	s_or_b64 exec, exec, s[4:5]
	s_mov_b32 s4, 0xcccd
	v_mul_u32_u24_sdwa v17, v22, s4 dst_sel:DWORD dst_unused:UNUSED_PAD src0_sel:WORD_0 src1_sel:DWORD
	v_lshrrev_b32_e32 v17, 19, v17
	v_mul_lo_u16_e32 v19, 10, v17
	v_sub_u16_e32 v19, v22, v19
	v_lshlrev_b32_e32 v21, 4, v19
	global_load_dwordx4 v[44:47], v21, s[8:9]
	v_mul_u32_u24_sdwa v27, v18, s4 dst_sel:DWORD dst_unused:UNUSED_PAD src0_sel:WORD_0 src1_sel:DWORD
	s_movk_i32 s5, 0xcd
	v_lshrrev_b32_e32 v27, 19, v27
	v_mul_lo_u16_sdwa v23, v16, s5 dst_sel:DWORD dst_unused:UNUSED_PAD src0_sel:BYTE_0 src1_sel:DWORD
	v_mul_lo_u16_e32 v37, 10, v27
	v_lshrrev_b16_e32 v23, 11, v23
	v_sub_u16_e32 v37, v18, v37
	v_mul_lo_u16_e32 v33, 10, v23
	v_lshlrev_b32_e32 v43, 4, v37
	global_load_dwordx4 v[48:51], v43, s[8:9]
	v_mov_b32_e32 v21, 4
	v_sub_u16_e32 v33, v16, v33
	v_lshlrev_b32_sdwa v21, v21, v33 dst_sel:DWORD dst_unused:UNUSED_PAD src0_sel:DWORD src1_sel:BYTE_0
	v_mul_u32_u24_e32 v17, 0xf0, v17
	v_lshlrev_b32_e32 v19, 3, v19
	v_add3_u32 v17, 0, v17, v19
	s_waitcnt vmcnt(1) lgkmcnt(4)
	v_pk_mul_f32 v[52:53], v[44:45], v[0:1] op_sel:[0,1]
	s_waitcnt lgkmcnt(3)
	v_pk_mul_f32 v[54:55], v[46:47], v[10:11] op_sel:[0,1]
	v_pk_fma_f32 v[56:57], v[44:45], v[0:1], v[52:53] op_sel:[0,0,1] op_sel_hi:[1,1,0]
	v_pk_fma_f32 v[52:53], v[44:45], v[0:1], v[52:53] op_sel:[0,0,1] op_sel_hi:[1,0,0] neg_lo:[1,0,0] neg_hi:[1,0,0]
	v_pk_fma_f32 v[58:59], v[46:47], v[10:11], v[54:55] op_sel:[0,0,1] op_sel_hi:[1,1,0]
	v_pk_fma_f32 v[10:11], v[46:47], v[10:11], v[54:55] op_sel:[0,0,1] op_sel_hi:[1,0,0] neg_lo:[1,0,0] neg_hi:[1,0,0]
	global_load_dwordx4 v[44:47], v21, s[8:9]
	v_lshlrev_b32_e32 v21, 3, v37
	v_mul_u32_u24_e32 v10, 0xf0, v27
	v_mov_b32_e32 v57, v53
	s_waitcnt vmcnt(1)
	v_pk_mul_f32 v[0:1], v[50:51], v[8:9] op_sel:[0,1]
	v_add3_u32 v21, 0, v10, v21
	v_pk_fma_f32 v[54:55], v[50:51], v[8:9], v[0:1] op_sel:[0,0,1] op_sel_hi:[1,1,0]
	v_pk_fma_f32 v[8:9], v[50:51], v[8:9], v[0:1] op_sel:[0,0,1] op_sel_hi:[1,0,0] neg_lo:[1,0,0] neg_hi:[1,0,0]
	v_pk_mul_f32 v[0:1], v[48:49], v[6:7] op_sel:[0,1]
	v_mul_u32_u24_e32 v8, 0xf0, v23
	v_pk_fma_f32 v[50:51], v[48:49], v[6:7], v[0:1] op_sel:[0,0,1] op_sel_hi:[1,1,0]
	v_pk_fma_f32 v[6:7], v[48:49], v[6:7], v[0:1] op_sel:[0,0,1] op_sel_hi:[1,0,0] neg_lo:[1,0,0] neg_hi:[1,0,0]
	v_mov_b32_e32 v59, v11
	v_mov_b32_e32 v51, v7
	v_mov_b32_e32 v55, v9
	s_waitcnt lgkmcnt(1)
	v_pk_add_f32 v[10:11], v[34:35], v[50:51]
	s_waitcnt vmcnt(0)
	v_pk_mul_f32 v[0:1], v[44:45], v[4:5] op_sel:[0,1]
	s_nop 0
	v_pk_fma_f32 v[48:49], v[44:45], v[4:5], v[0:1] op_sel:[0,0,1] op_sel_hi:[1,1,0]
	v_pk_fma_f32 v[44:45], v[44:45], v[4:5], v[0:1] op_sel:[0,0,1] op_sel_hi:[1,0,0] neg_lo:[1,0,0] neg_hi:[1,0,0]
	v_pk_mul_f32 v[0:1], v[46:47], v[2:3] op_sel:[0,1]
	v_mov_b32_e32 v49, v45
	v_pk_fma_f32 v[60:61], v[46:47], v[2:3], v[0:1] op_sel:[0,0,1] op_sel_hi:[1,1,0]
	v_pk_fma_f32 v[46:47], v[46:47], v[2:3], v[0:1] op_sel:[0,0,1] op_sel_hi:[1,0,0] neg_lo:[1,0,0] neg_hi:[1,0,0]
	v_mul_u32_u24_sdwa v0, v20, s4 dst_sel:DWORD dst_unused:UNUSED_PAD src0_sel:WORD_0 src1_sel:DWORD
	v_lshrrev_b32_e32 v0, 19, v0
	v_mul_lo_u16_e32 v1, 10, v0
	v_sub_u16_e32 v1, v20, v1
	v_mov_b32_e32 v2, 3
	v_lshlrev_b32_e32 v3, 4, v1
	v_lshlrev_b32_sdwa v6, v2, v33 dst_sel:DWORD dst_unused:UNUSED_PAD src0_sel:DWORD src1_sel:BYTE_0
	global_load_dwordx4 v[2:5], v3, s[8:9]
	v_mov_b32_e32 v61, v47
	s_mov_b32 s4, 0x3f5db3d7
	v_add3_u32 v23, 0, v8, v6
	v_pk_add_f32 v[44:45], v[48:49], v[60:61] neg_lo:[0,1] neg_hi:[0,1]
	s_waitcnt lgkmcnt(0)
	v_pk_add_f32 v[8:9], v[30:31], v[56:57]
	v_pk_mul_f32 v[44:45], v[44:45], s[4:5] op_sel_hi:[1,0]
	s_barrier
	s_waitcnt vmcnt(0)
	v_pk_mul_f32 v[36:37], v[36:37], v[2:3] op_sel_hi:[0,1]
	v_pk_mul_f32 v[62:63], v[38:39], v[4:5] op_sel_hi:[0,1]
	v_pk_fma_f32 v[64:65], v[26:27], v[2:3], v[36:37] op_sel:[0,0,1] op_sel_hi:[1,1,0]
	v_pk_fma_f32 v[2:3], v[26:27], v[2:3], v[36:37] op_sel:[0,0,1] op_sel_hi:[0,1,0] neg_lo:[1,0,0] neg_hi:[1,0,0]
	v_pk_fma_f32 v[26:27], v[32:33], v[4:5], v[62:63] op_sel:[0,0,1] op_sel_hi:[1,1,0]
	v_pk_fma_f32 v[4:5], v[32:33], v[4:5], v[62:63] op_sel:[0,0,1] op_sel_hi:[0,1,0] neg_lo:[1,0,0] neg_hi:[1,0,0]
	v_mov_b32_e32 v65, v3
	v_mov_b32_e32 v27, v5
	v_pk_add_f32 v[2:3], v[24:25], v[64:65]
	v_pk_add_f32 v[4:5], v[64:65], v[26:27]
	v_pk_add_f32 v[6:7], v[64:65], v[26:27] neg_lo:[0,1] neg_hi:[0,1]
	v_pk_add_f32 v[36:37], v[48:49], v[60:61]
	v_pk_add_f32 v[32:33], v[28:29], v[48:49]
	;; [unrolled: 1-line block ×3, first 2 shown]
	v_pk_fma_f32 v[2:3], v[4:5], 0.5, v[24:25] op_sel_hi:[1,0,1] neg_lo:[1,0,0] neg_hi:[1,0,0]
	v_pk_mul_f32 v[4:5], v[6:7], s[4:5] op_sel_hi:[1,0]
	v_pk_fma_f32 v[36:37], v[36:37], 0.5, v[28:29] op_sel_hi:[1,0,1] neg_lo:[1,0,0] neg_hi:[1,0,0]
	v_pk_add_f32 v[6:7], v[8:9], v[58:59]
	v_pk_add_f32 v[8:9], v[10:11], v[54:55]
	;; [unrolled: 1-line block ×3, first 2 shown]
	v_pk_add_f32 v[28:29], v[2:3], v[4:5] op_sel:[0,1] op_sel_hi:[1,0] neg_lo:[0,1] neg_hi:[0,1]
	v_pk_add_f32 v[32:33], v[2:3], v[4:5] op_sel:[0,1] op_sel_hi:[1,0]
	v_pk_add_f32 v[2:3], v[36:37], v[44:45] op_sel:[0,1] op_sel_hi:[1,0] neg_lo:[0,1] neg_hi:[0,1]
	v_pk_add_f32 v[4:5], v[36:37], v[44:45] op_sel:[0,1] op_sel_hi:[1,0]
	v_mov_b32_e32 v36, v2
	v_mov_b32_e32 v37, v5
	;; [unrolled: 1-line block ×3, first 2 shown]
	ds_write_b64 v23, v[4:5] offset:160
	v_pk_add_f32 v[2:3], v[50:51], v[54:55]
	v_pk_add_f32 v[4:5], v[50:51], v[54:55] neg_lo:[0,1] neg_hi:[0,1]
	v_pk_fma_f32 v[2:3], v[2:3], 0.5, v[34:35] op_sel_hi:[1,0,1] neg_lo:[1,0,0] neg_hi:[1,0,0]
	v_pk_mul_f32 v[4:5], v[4:5], s[4:5] op_sel_hi:[1,0]
	ds_write2_b64 v23, v[10:11], v[36:37] offset1:10
	v_pk_add_f32 v[10:11], v[2:3], v[4:5] op_sel:[0,1] op_sel_hi:[1,0] neg_lo:[0,1] neg_hi:[0,1]
	v_pk_add_f32 v[2:3], v[2:3], v[4:5] op_sel:[0,1] op_sel_hi:[1,0]
	v_mov_b32_e32 v4, v10
	v_mov_b32_e32 v5, v3
	;; [unrolled: 1-line block ×3, first 2 shown]
	ds_write2_b64 v21, v[8:9], v[4:5] offset1:10
	ds_write_b64 v21, v[2:3] offset:160
	v_pk_add_f32 v[2:3], v[56:57], v[58:59]
	v_pk_add_f32 v[4:5], v[56:57], v[58:59] neg_lo:[0,1] neg_hi:[0,1]
	v_pk_fma_f32 v[2:3], v[2:3], 0.5, v[30:31] op_sel_hi:[1,0,1] neg_lo:[1,0,0] neg_hi:[1,0,0]
	v_pk_mul_f32 v[4:5], v[4:5], s[4:5] op_sel_hi:[1,0]
	v_mov_b32_e32 v24, v32
	v_pk_add_f32 v[8:9], v[2:3], v[4:5] op_sel:[0,1] op_sel_hi:[1,0] neg_lo:[0,1] neg_hi:[0,1]
	v_pk_add_f32 v[2:3], v[2:3], v[4:5] op_sel:[0,1] op_sel_hi:[1,0]
	v_mov_b32_e32 v25, v29
	v_mov_b32_e32 v4, v8
	v_mov_b32_e32 v5, v3
	v_mov_b32_e32 v3, v9
	ds_write2_b64 v17, v[6:7], v[4:5] offset1:10
	ds_write_b64 v17, v[2:3] offset:160
	s_and_saveexec_b64 s[4:5], s[2:3]
	s_cbranch_execz .LBB0_17
; %bb.16:
	v_mul_lo_u16_e32 v0, 30, v0
	v_lshlrev_b32_e32 v1, 3, v1
	v_lshlrev_b32_e32 v0, 3, v0
	v_add3_u32 v0, 0, v1, v0
	v_mov_b32_e32 v29, v33
	ds_write2_b64 v0, v[26:27], v[28:29] offset1:10
	ds_write_b64 v0, v[24:25] offset:160
.LBB0_17:
	s_or_b64 exec, exec, s[4:5]
	v_add_u32_e32 v0, 0x1000, v39
	s_waitcnt lgkmcnt(0)
	s_barrier
	ds_read2_b64 v[4:7], v0 offset0:28 offset1:190
	v_add_u32_e32 v0, 0x1a00, v39
	v_add_u32_e32 v8, 0x2400, v39
	ds_read2_b64 v[0:3], v0 offset0:32 offset1:248
	ds_read2_b64 v[8:11], v8 offset0:90 offset1:252
	ds_read_b64 v[36:37], v39
	ds_read_b64 v[34:35], v42
	;; [unrolled: 1-line block ×3, first 2 shown]
	s_and_saveexec_b64 s[4:5], s[2:3]
	s_cbranch_execz .LBB0_19
; %bb.18:
	ds_read_b64 v[32:33], v39 offset:8208
	ds_read_b64 v[26:27], v40
	ds_read_b64 v[24:25], v39 offset:12528
	s_waitcnt lgkmcnt(2)
	v_mov_b32_e32 v28, v32
.LBB0_19:
	s_or_b64 exec, exec, s[4:5]
	s_mov_b32 s4, 0x8889
	v_mul_u32_u24_sdwa v17, v22, s4 dst_sel:DWORD dst_unused:UNUSED_PAD src0_sel:WORD_0 src1_sel:DWORD
	v_lshrrev_b32_e32 v21, 20, v17
	v_mul_lo_u16_e32 v17, 30, v21
	v_sub_u16_e32 v23, v22, v17
	v_lshlrev_b32_e32 v17, 4, v23
	global_load_dwordx4 v[44:47], v17, s[8:9] offset:160
	s_movk_i32 s5, 0x89
	v_mul_u32_u24_sdwa v19, v18, s4 dst_sel:DWORD dst_unused:UNUSED_PAD src0_sel:WORD_0 src1_sel:DWORD
	v_mul_lo_u16_sdwa v17, v16, s5 dst_sel:DWORD dst_unused:UNUSED_PAD src0_sel:BYTE_0 src1_sel:DWORD
	v_mul_u32_u24_sdwa v32, v20, s4 dst_sel:DWORD dst_unused:UNUSED_PAD src0_sel:WORD_0 src1_sel:DWORD
	v_lshrrev_b32_e32 v43, 20, v19
	v_lshrrev_b16_e32 v38, 12, v17
	v_lshrrev_b32_e32 v17, 20, v32
	v_mul_lo_u16_e32 v32, 30, v43
	v_mul_lo_u16_e32 v19, 30, v38
	;; [unrolled: 1-line block ×3, first 2 shown]
	v_sub_u16_e32 v32, v18, v32
	v_sub_u16_e32 v64, v16, v19
	;; [unrolled: 1-line block ×3, first 2 shown]
	v_lshlrev_b32_e32 v48, 4, v32
	v_mov_b32_e32 v29, 4
	global_load_dwordx4 v[48:51], v48, s[8:9] offset:160
	v_lshlrev_b32_sdwa v29, v29, v64 dst_sel:DWORD dst_unused:UNUSED_PAD src0_sel:DWORD src1_sel:BYTE_0
	v_lshlrev_b32_e32 v52, 4, v19
	global_load_dwordx4 v[52:55], v52, s[8:9] offset:160
	s_mov_b32 s4, 0x3f5db3d7
	s_waitcnt vmcnt(2) lgkmcnt(3)
	v_pk_mul_f32 v[56:57], v[46:47], v[10:11] op_sel:[0,1]
	s_nop 0
	v_pk_fma_f32 v[60:61], v[46:47], v[10:11], v[56:57] op_sel:[0,0,1] op_sel_hi:[1,1,0]
	v_pk_fma_f32 v[10:11], v[46:47], v[10:11], v[56:57] op_sel:[0,0,1] op_sel_hi:[1,0,0] neg_lo:[1,0,0] neg_hi:[1,0,0]
	global_load_dwordx4 v[56:59], v29, s[8:9] offset:160
	v_lshlrev_b32_e32 v10, 3, v32
	v_mov_b32_e32 v61, v11
	s_waitcnt lgkmcnt(0)
	s_barrier
	s_waitcnt vmcnt(2)
	v_pk_mul_f32 v[46:47], v[50:51], v[8:9] op_sel:[0,1]
	s_nop 0
	v_pk_fma_f32 v[62:63], v[50:51], v[8:9], v[46:47] op_sel:[0,0,1] op_sel_hi:[1,1,0]
	v_pk_fma_f32 v[8:9], v[50:51], v[8:9], v[46:47] op_sel:[0,0,1] op_sel_hi:[1,0,0] neg_lo:[1,0,0] neg_hi:[1,0,0]
	v_pk_mul_f32 v[46:47], v[48:49], v[6:7] op_sel:[0,1]
	v_mul_u32_u24_e32 v8, 0x2d0, v43
	v_pk_fma_f32 v[50:51], v[48:49], v[6:7], v[46:47] op_sel:[0,0,1] op_sel_hi:[1,1,0]
	v_pk_fma_f32 v[6:7], v[48:49], v[6:7], v[46:47] op_sel:[0,0,1] op_sel_hi:[1,0,0] neg_lo:[1,0,0] neg_hi:[1,0,0]
	v_add3_u32 v43, 0, v8, v10
	v_mul_u32_u24_e32 v6, 0x2d0, v38
	v_mov_b32_e32 v51, v7
	v_mov_b32_e32 v63, v9
	v_pk_add_f32 v[8:9], v[34:35], v[50:51]
	s_waitcnt vmcnt(0)
	v_pk_mul_f32 v[46:47], v[56:57], v[4:5] op_sel:[0,1]
	s_nop 0
	v_pk_fma_f32 v[48:49], v[56:57], v[4:5], v[46:47] op_sel:[0,0,1] op_sel_hi:[1,1,0]
	v_pk_fma_f32 v[4:5], v[56:57], v[4:5], v[46:47] op_sel:[0,0,1] op_sel_hi:[1,0,0] neg_lo:[1,0,0] neg_hi:[1,0,0]
	v_pk_mul_f32 v[46:47], v[58:59], v[2:3] op_sel:[0,1]
	v_mov_b32_e32 v49, v5
	v_pk_fma_f32 v[56:57], v[58:59], v[2:3], v[46:47] op_sel:[0,0,1] op_sel_hi:[1,1,0]
	v_pk_fma_f32 v[2:3], v[58:59], v[2:3], v[46:47] op_sel:[0,0,1] op_sel_hi:[1,0,0] neg_lo:[1,0,0] neg_hi:[1,0,0]
	v_pk_mul_f32 v[46:47], v[44:45], v[0:1] op_sel_hi:[1,0]
	v_mov_b32_e32 v2, v1
	v_pk_fma_f32 v[0:1], v[44:45], v[0:1], v[46:47] op_sel:[1,1,0] op_sel_hi:[0,1,1] neg_lo:[0,0,1] neg_hi:[0,0,1]
	v_pk_fma_f32 v[44:45], v[44:45], v[2:3], v[46:47] op_sel:[1,0,0] op_sel_hi:[0,1,1]
	v_mov_b32_e32 v2, 3
	v_mov_b32_e32 v0, v33
	v_lshlrev_b32_sdwa v4, v2, v64 dst_sel:DWORD dst_unused:UNUSED_PAD src0_sel:DWORD src1_sel:BYTE_0
	v_mov_b32_e32 v2, v25
	v_pk_mul_f32 v[32:33], v[0:1], v[52:53] op_sel_hi:[0,1]
	v_pk_mul_f32 v[46:47], v[2:3], v[54:55] op_sel_hi:[0,1]
	v_pk_fma_f32 v[58:59], v[28:29], v[52:53], v[32:33] op_sel:[0,0,1] op_sel_hi:[1,1,0]
	v_pk_fma_f32 v[28:29], v[28:29], v[52:53], v[32:33] op_sel:[0,0,1] op_sel_hi:[0,1,0] neg_lo:[1,0,0] neg_hi:[1,0,0]
	v_pk_fma_f32 v[32:33], v[24:25], v[54:55], v[46:47] op_sel:[0,0,1] op_sel_hi:[1,1,0]
	v_pk_fma_f32 v[24:25], v[24:25], v[54:55], v[46:47] op_sel:[0,0,1] op_sel_hi:[0,1,0] neg_lo:[1,0,0] neg_hi:[1,0,0]
	v_mov_b32_e32 v59, v29
	v_mov_b32_e32 v33, v25
	;; [unrolled: 1-line block ×3, first 2 shown]
	v_add3_u32 v38, 0, v6, v4
	v_pk_add_f32 v[2:3], v[26:27], v[58:59]
	v_pk_add_f32 v[4:5], v[58:59], v[32:33]
	v_pk_add_f32 v[6:7], v[58:59], v[32:33] neg_lo:[0,1] neg_hi:[0,1]
	v_pk_add_f32 v[28:29], v[48:49], v[56:57]
	v_pk_add_f32 v[46:47], v[48:49], v[56:57] neg_lo:[0,1] neg_hi:[0,1]
	v_pk_add_f32 v[10:11], v[36:37], v[48:49]
	v_pk_add_f32 v[24:25], v[2:3], v[32:33]
	v_pk_fma_f32 v[2:3], v[4:5], 0.5, v[26:27] op_sel_hi:[1,0,1] neg_lo:[1,0,0] neg_hi:[1,0,0]
	v_pk_mul_f32 v[4:5], v[6:7], s[4:5] op_sel_hi:[1,0]
	v_pk_fma_f32 v[28:29], v[28:29], 0.5, v[36:37] op_sel_hi:[1,0,1] neg_lo:[1,0,0] neg_hi:[1,0,0]
	v_pk_mul_f32 v[32:33], v[46:47], s[4:5] op_sel_hi:[1,0]
	v_pk_add_f32 v[6:7], v[8:9], v[62:63]
	v_pk_add_f32 v[8:9], v[10:11], v[56:57]
	v_pk_add_f32 v[26:27], v[2:3], v[4:5] op_sel:[0,1] op_sel_hi:[1,0] neg_lo:[0,1] neg_hi:[0,1]
	v_pk_add_f32 v[10:11], v[2:3], v[4:5] op_sel:[0,1] op_sel_hi:[1,0]
	v_pk_add_f32 v[2:3], v[28:29], v[32:33] op_sel:[0,1] op_sel_hi:[1,0] neg_lo:[0,1] neg_hi:[0,1]
	v_pk_add_f32 v[4:5], v[28:29], v[32:33] op_sel:[0,1] op_sel_hi:[1,0]
	v_mov_b32_e32 v28, v2
	v_mov_b32_e32 v29, v5
	;; [unrolled: 1-line block ×3, first 2 shown]
	ds_write_b64 v38, v[4:5] offset:480
	v_pk_add_f32 v[2:3], v[50:51], v[62:63]
	v_pk_add_f32 v[4:5], v[50:51], v[62:63] neg_lo:[0,1] neg_hi:[0,1]
	v_pk_fma_f32 v[2:3], v[2:3], 0.5, v[34:35] op_sel_hi:[1,0,1] neg_lo:[1,0,0] neg_hi:[1,0,0]
	v_pk_mul_f32 v[4:5], v[4:5], s[4:5] op_sel_hi:[1,0]
	ds_write2_b64 v38, v[8:9], v[28:29] offset1:30
	v_pk_add_f32 v[8:9], v[2:3], v[4:5] op_sel:[0,1] op_sel_hi:[1,0] neg_lo:[0,1] neg_hi:[0,1]
	v_pk_add_f32 v[2:3], v[2:3], v[4:5] op_sel:[0,1] op_sel_hi:[1,0]
	v_mov_b32_e32 v45, v1
	v_mov_b32_e32 v5, v3
	;; [unrolled: 1-line block ×4, first 2 shown]
	ds_write_b64 v43, v[2:3] offset:480
	v_mul_u32_u24_e32 v2, 0x2d0, v21
	v_lshlrev_b32_e32 v3, 3, v23
	ds_write2_b64 v43, v[6:7], v[4:5] offset1:30
	v_add3_u32 v6, 0, v2, v3
	v_pk_add_f32 v[2:3], v[44:45], v[60:61]
	v_pk_add_f32 v[4:5], v[44:45], v[60:61] neg_lo:[0,1] neg_hi:[0,1]
	v_pk_fma_f32 v[2:3], v[2:3], 0.5, v[30:31] op_sel_hi:[1,0,1] neg_lo:[1,0,0] neg_hi:[1,0,0]
	v_pk_mul_f32 v[4:5], v[4:5], s[4:5] op_sel_hi:[1,0]
	v_pk_add_f32 v[0:1], v[30:31], v[44:45]
	v_pk_add_f32 v[28:29], v[2:3], v[4:5] op_sel:[0,1] op_sel_hi:[1,0] neg_lo:[0,1] neg_hi:[0,1]
	v_pk_add_f32 v[30:31], v[2:3], v[4:5] op_sel:[0,1] op_sel_hi:[1,0]
	v_pk_add_f32 v[0:1], v[0:1], v[60:61]
	v_mov_b32_e32 v2, v28
	v_mov_b32_e32 v3, v31
	ds_write2_b64 v6, v[0:1], v[2:3] offset1:30
	v_mov_b32_e32 v2, v30
	v_mov_b32_e32 v3, v29
	ds_write_b64 v6, v[2:3] offset:480
	s_and_saveexec_b64 s[4:5], s[2:3]
	s_cbranch_execz .LBB0_21
; %bb.20:
	v_mul_lo_u16_e32 v2, 0x5a, v17
	v_lshlrev_b32_e32 v3, 3, v19
	v_lshlrev_b32_e32 v2, 3, v2
	v_add3_u32 v4, 0, v3, v2
	v_mov_b32_e32 v2, v26
	v_mov_b32_e32 v3, v11
	ds_write2_b64 v4, v[24:25], v[2:3] offset1:30
	v_mov_b32_e32 v2, v10
	v_mov_b32_e32 v3, v27
	ds_write_b64 v4, v[2:3] offset:480
.LBB0_21:
	s_or_b64 exec, exec, s[4:5]
	s_waitcnt lgkmcnt(0)
	s_barrier
	ds_read_b64 v[2:3], v39
	ds_read_b64 v[34:35], v39 offset:2160
	ds_read_b64 v[32:33], v39 offset:4320
	;; [unrolled: 1-line block ×5, first 2 shown]
	s_movk_i32 s4, 0x6c
	v_cmp_gt_u32_e32 vcc, s4, v16
	s_and_saveexec_b64 s[4:5], vcc
	s_cbranch_execz .LBB0_23
; %bb.22:
	ds_read_b64 v[0:1], v42
	ds_read_b64 v[26:27], v39 offset:12096
	ds_read_b64 v[30:31], v39 offset:9936
	;; [unrolled: 1-line block ×5, first 2 shown]
	s_waitcnt lgkmcnt(4)
	v_mov_b32_e32 v10, v26
	s_waitcnt lgkmcnt(3)
	v_mov_b32_e32 v11, v31
	v_mov_b32_e32 v26, v30
	s_waitcnt lgkmcnt(1)
	v_mov_b32_e32 v30, v28
	v_mov_b32_e32 v31, v37
	;; [unrolled: 1-line block ×3, first 2 shown]
.LBB0_23:
	s_or_b64 exec, exec, s[4:5]
	s_movk_i32 s4, 0x5a
	v_add_u32_e32 v17, 0xffffffa6, v16
	v_cmp_gt_u32_e64 s[4:5], s4, v16
	v_mov_b32_e32 v37, 0
	v_mov_b32_e32 v38, v31
	v_cndmask_b32_e64 v21, v17, v16, s[4:5]
	v_mul_i32_i24_e32 v36, 5, v21
	v_lshl_add_u64 v[36:37], v[36:37], 3, s[8:9]
	s_movk_i32 s4, 0x2d83
	global_load_dwordx4 v[44:47], v[36:37], off offset:640
	v_mul_u32_u24_sdwa v17, v18, s4 dst_sel:DWORD dst_unused:UNUSED_PAD src0_sel:WORD_0 src1_sel:DWORD
	v_lshrrev_b32_e32 v17, 20, v17
	v_mul_lo_u16_e32 v19, 0x5a, v17
	v_sub_u16_e32 v19, v18, v19
	v_mul_u32_u24_e32 v23, 5, v19
	v_lshlrev_b32_e32 v23, 3, v23
	global_load_dwordx4 v[48:51], v23, s[8:9] offset:640
	global_load_dwordx4 v[52:55], v23, s[8:9] offset:656
	global_load_dwordx4 v[56:59], v[36:37], off offset:656
	global_load_dwordx2 v[60:61], v23, s[8:9] offset:672
	global_load_dwordx2 v[62:63], v[36:37], off offset:672
	s_movk_i32 s4, 0x59
	v_cmp_lt_u32_e64 s[4:5], s4, v16
	v_lshlrev_b32_e32 v21, 3, v21
	s_mov_b32 s14, 0x3f5db3d7
	s_mov_b32 s15, 0.5
	s_waitcnt lgkmcnt(0)
	s_barrier
	s_mov_b32 s12, -0.5
	s_mov_b32 s13, s14
	s_waitcnt vmcnt(5)
	v_pk_mul_f32 v[64:65], v[46:47], v[32:33] op_sel:[0,1]
	s_nop 0
	v_pk_fma_f32 v[68:69], v[46:47], v[32:33], v[64:65] op_sel:[0,0,1] op_sel_hi:[1,1,0]
	v_pk_fma_f32 v[32:33], v[46:47], v[32:33], v[64:65] op_sel:[0,0,1] op_sel_hi:[1,0,0] neg_lo:[1,0,0] neg_hi:[1,0,0]
	v_pk_mul_f32 v[36:37], v[44:45], v[34:35] op_sel:[0,1]
	v_mov_b32_e32 v32, v29
	v_pk_fma_f32 v[66:67], v[44:45], v[34:35], v[36:37] op_sel:[0,0,1] op_sel_hi:[1,0,0]
	v_pk_fma_f32 v[44:45], v[44:45], v[34:35], v[36:37] op_sel:[0,0,1] op_sel_hi:[1,0,0] neg_lo:[1,0,0] neg_hi:[1,0,0]
	s_waitcnt vmcnt(4)
	v_pk_mul_f32 v[36:37], v[38:39], v[48:49] op_sel_hi:[0,1]
	v_pk_mul_f32 v[46:47], v[32:33], v[50:51] op_sel_hi:[0,1]
	v_pk_fma_f32 v[64:65], v[28:29], v[48:49], v[36:37] op_sel:[0,0,1] op_sel_hi:[0,1,0]
	v_pk_fma_f32 v[28:29], v[28:29], v[48:49], v[36:37] op_sel:[0,0,1] op_sel_hi:[0,1,0] neg_lo:[1,0,0] neg_hi:[1,0,0]
	v_pk_fma_f32 v[36:37], v[30:31], v[50:51], v[46:47] op_sel:[0,0,1] op_sel_hi:[1,1,0]
	v_pk_fma_f32 v[30:31], v[30:31], v[50:51], v[46:47] op_sel:[0,0,1] op_sel_hi:[0,1,0] neg_lo:[1,0,0] neg_hi:[1,0,0]
	v_mov_b32_e32 v34, v25
	v_mov_b32_e32 v28, v11
	;; [unrolled: 1-line block ×4, first 2 shown]
	v_cndmask_b32_e64 v11, 0, v11, s[4:5]
	s_waitcnt vmcnt(3)
	v_pk_mul_f32 v[34:35], v[34:35], v[52:53] op_sel_hi:[0,1]
	v_mov_b32_e32 v69, v33
	s_waitcnt vmcnt(1)
	v_pk_mul_f32 v[32:33], v[30:31], v[60:61] op_sel_hi:[0,1]
	v_add3_u32 v23, 0, v11, v21
	v_pk_fma_f32 v[48:49], v[24:25], v[52:53], v[34:35] op_sel:[0,0,1] op_sel_hi:[1,1,0]
	v_pk_fma_f32 v[24:25], v[24:25], v[52:53], v[34:35] op_sel:[0,0,1] op_sel_hi:[0,1,0] neg_lo:[1,0,0] neg_hi:[1,0,0]
	v_pk_fma_f32 v[52:53], v[10:11], v[60:61], v[32:33] op_sel:[0,0,1] op_sel_hi:[1,1,0]
	v_pk_fma_f32 v[10:11], v[10:11], v[60:61], v[32:33] op_sel:[0,0,1] op_sel_hi:[0,1,0] neg_lo:[1,0,0] neg_hi:[1,0,0]
	v_pk_mul_f32 v[46:47], v[28:29], v[54:55] op_sel_hi:[0,1]
	v_mov_b32_e32 v49, v25
	v_mov_b32_e32 v53, v11
	v_pk_fma_f32 v[34:35], v[26:27], v[54:55], v[46:47] op_sel:[0,0,1] op_sel_hi:[1,1,0]
	v_pk_fma_f32 v[26:27], v[26:27], v[54:55], v[46:47] op_sel:[0,0,1] op_sel_hi:[0,1,0] neg_lo:[1,0,0] neg_hi:[1,0,0]
	v_pk_add_f32 v[24:25], v[48:49], v[52:53]
	v_mov_b32_e32 v65, v29
	v_mov_b32_e32 v26, v64
	v_pk_add_f32 v[32:33], v[48:49], v[52:53] neg_lo:[0,1] neg_hi:[0,1]
	v_fmac_f32_e32 v29, -0.5, v25
	v_pk_mul_f32 v[46:47], v[56:57], v[8:9] op_sel:[0,1]
	v_fmac_f32_e32 v26, -0.5, v24
	v_fmamk_f32 v21, v32, 0x3f5db3d7, v29
	v_pk_fma_f32 v[50:51], v[56:57], v[8:9], v[46:47] op_sel:[0,0,1] op_sel_hi:[1,1,0]
	v_mov_b32_e32 v35, v27
	v_fmamk_f32 v27, v33, 0xbf5db3d7, v26
	v_mul_f32_e32 v9, 0xbf5db3d7, v21
	v_fmac_f32_e32 v9, 0.5, v27
	v_mov_b32_e32 v37, v31
	v_pk_fma_f32 v[46:47], v[56:57], v[8:9], v[46:47] op_sel:[0,0,1] op_sel_hi:[1,0,0] neg_lo:[1,0,0] neg_hi:[1,0,0]
	v_pk_add_f32 v[30:31], v[64:65], v[48:49]
	v_pk_add_f32 v[48:49], v[36:37], v[34:35]
	v_mov_b32_e32 v51, v47
	v_pk_mul_f32 v[46:47], v[58:59], v[6:7] op_sel:[0,1]
	v_pk_add_f32 v[10:11], v[0:1], v[36:37]
	v_pk_fma_f32 v[0:1], v[48:49], 0.5, v[0:1] op_sel_hi:[1,0,1] neg_lo:[1,0,0] neg_hi:[1,0,0]
	v_pk_fma_f32 v[48:49], v[58:59], v[6:7], v[46:47] op_sel:[0,0,1] op_sel_hi:[1,1,0]
	v_pk_fma_f32 v[6:7], v[58:59], v[6:7], v[46:47] op_sel:[0,0,1] op_sel_hi:[1,0,0] neg_lo:[1,0,0] neg_hi:[1,0,0]
	v_pk_add_f32 v[36:37], v[36:37], v[34:35] neg_lo:[0,1] neg_hi:[0,1]
	v_mov_b32_e32 v49, v7
	s_waitcnt vmcnt(0)
	v_pk_mul_f32 v[6:7], v[62:63], v[4:5] op_sel:[0,1]
	v_pk_mul_f32 v[24:25], v[36:37], s[14:15] op_sel_hi:[1,0]
	v_pk_fma_f32 v[46:47], v[62:63], v[4:5], v[6:7] op_sel:[0,0,1] op_sel_hi:[1,1,0]
	v_pk_fma_f32 v[4:5], v[62:63], v[4:5], v[6:7] op_sel:[0,0,1] op_sel_hi:[1,0,0] neg_lo:[1,0,0] neg_hi:[1,0,0]
	v_mov_b32_e32 v8, v66
	v_mov_b32_e32 v47, v5
	v_pk_add_f32 v[6:7], v[50:51], v[46:47]
	v_mov_b32_e32 v67, v45
	v_pk_add_f32 v[30:31], v[30:31], v[52:53]
	v_pk_add_f32 v[36:37], v[24:25], v[0:1] op_sel:[1,0] op_sel_hi:[0,1]
	v_pk_add_f32 v[4:5], v[2:3], v[68:69]
	v_fmac_f32_e32 v8, -0.5, v6
	v_pk_add_f32 v[52:53], v[50:51], v[46:47] neg_lo:[0,1] neg_hi:[0,1]
	v_fmac_f32_e32 v45, -0.5, v7
	v_fmac_f32_e32 v26, 0x3f5db3d7, v33
	v_fmac_f32_e32 v29, 0xbf5db3d7, v32
	v_pk_add_f32 v[32:33], v[0:1], v[24:25] op_sel:[0,1] op_sel_hi:[1,0] neg_lo:[0,1] neg_hi:[0,1]
	v_mov_b32_e32 v0, v36
	v_pk_add_f32 v[4:5], v[4:5], v[48:49]
	v_fmamk_f32 v6, v53, 0xbf5db3d7, v8
	v_fmac_f32_e32 v8, 0x3f5db3d7, v53
	v_fmamk_f32 v36, v52, 0x3f5db3d7, v45
	v_fmac_f32_e32 v45, 0xbf5db3d7, v52
	v_pk_add_f32 v[52:53], v[68:69], v[48:49]
	v_pk_add_f32 v[48:49], v[68:69], v[48:49] neg_lo:[0,1] neg_hi:[0,1]
	v_pk_fma_f32 v[2:3], v[52:53], 0.5, v[2:3] op_sel_hi:[1,0,1] neg_lo:[1,0,0] neg_hi:[1,0,0]
	v_pk_mul_f32 v[48:49], v[48:49], s[14:15] op_sel_hi:[1,0]
	s_mov_b32 s4, s15
	s_mov_b32 s5, s14
	v_pk_mul_f32 v[54:55], v[36:37], s[14:15] op_sel_hi:[0,1]
	v_pk_add_f32 v[50:51], v[66:67], v[50:51]
	v_pk_add_f32 v[52:53], v[2:3], v[48:49] op_sel:[0,1] op_sel_hi:[1,0] neg_lo:[0,1] neg_hi:[0,1]
	v_pk_add_f32 v[2:3], v[2:3], v[48:49] op_sel:[0,1] op_sel_hi:[1,0]
	v_pk_fma_f32 v[56:57], v[6:7], s[4:5], v[54:55] neg_lo:[0,0,1] neg_hi:[0,0,1]
	v_pk_fma_f32 v[6:7], v[6:7], s[4:5], v[54:55] op_sel_hi:[0,1,1]
	v_pk_add_f32 v[46:47], v[50:51], v[46:47]
	v_mov_b32_e32 v48, v52
	v_mov_b32_e32 v49, v3
	;; [unrolled: 1-line block ×3, first 2 shown]
	v_pk_add_f32 v[50:51], v[4:5], v[46:47]
	v_pk_add_f32 v[6:7], v[48:49], v[56:57]
	ds_write2_b64 v23, v[50:51], v[6:7] offset1:90
	v_mov_b32_e32 v6, v45
	v_mov_b32_e32 v28, v29
	v_pk_mul_f32 v[6:7], v[6:7], s[14:15] op_sel_hi:[0,1]
	v_mul_f32_e32 v21, 0.5, v21
	v_pk_mul_f32 v[28:29], v[28:29], s[14:15] op_sel_hi:[0,1]
	v_pk_fma_f32 v[6:7], v[8:9], s[12:13], v[6:7] op_sel_hi:[0,1,1] neg_lo:[0,0,1] neg_hi:[0,0,1]
	v_mov_b32_e32 v3, v53
	v_pk_add_f32 v[10:11], v[10:11], v[34:35]
	v_mov_b32_e32 v1, v33
	v_fmac_f32_e32 v21, 0x3f5db3d7, v27
	v_pk_fma_f32 v[34:35], v[26:27], s[12:13], v[28:29] op_sel_hi:[0,1,1] neg_lo:[0,0,1] neg_hi:[0,0,1]
	v_pk_add_f32 v[44:45], v[2:3], v[6:7]
	v_pk_add_f32 v[4:5], v[4:5], v[46:47] neg_lo:[0,1] neg_hi:[0,1]
	v_add_u32_e32 v8, 0x400, v23
	v_pk_add_f32 v[24:25], v[10:11], v[30:31] neg_lo:[0,1] neg_hi:[0,1]
	v_sub_f32_e32 v26, v32, v9
	v_sub_f32_e32 v27, v37, v21
	v_pk_add_f32 v[28:29], v[0:1], v[34:35] neg_lo:[0,1] neg_hi:[0,1]
	ds_write2_b64 v8, v[44:45], v[4:5] offset0:52 offset1:142
	v_pk_add_f32 v[4:5], v[48:49], v[56:57] neg_lo:[0,1] neg_hi:[0,1]
	v_pk_add_f32 v[2:3], v[2:3], v[6:7] neg_lo:[0,1] neg_hi:[0,1]
	v_add_u32_e32 v6, 0x800, v23
	ds_write2_b64 v6, v[4:5], v[2:3] offset0:104 offset1:194
	s_and_saveexec_b64 s[4:5], vcc
	s_cbranch_execz .LBB0_25
; %bb.24:
	v_mul_lo_u16_e32 v4, 0x21c, v17
	v_lshlrev_b32_e32 v5, 3, v19
	v_lshlrev_b32_e32 v4, 3, v4
	v_add_f32_e32 v3, v37, v21
	v_add_f32_e32 v2, v32, v9
	v_add3_u32 v6, 0, v5, v4
	v_pk_add_f32 v[4:5], v[10:11], v[30:31]
	ds_write2_b64 v6, v[4:5], v[2:3] offset1:90
	v_pk_add_f32 v[0:1], v[0:1], v[34:35]
	v_add_u32_e32 v2, 0x400, v6
	ds_write2_b64 v2, v[0:1], v[24:25] offset0:52 offset1:142
	v_add_u32_e32 v0, 0x800, v6
	ds_write2_b64 v0, v[26:27], v[28:29] offset0:104 offset1:194
.LBB0_25:
	s_or_b64 exec, exec, s[4:5]
	v_add_u32_e32 v4, 0x1a00, v39
	s_waitcnt lgkmcnt(0)
	s_barrier
	v_add_u32_e32 v0, 0x1000, v39
	ds_read2_b64 v[8:11], v4 offset0:32 offset1:248
	v_add_u32_e32 v4, 0x2400, v39
	ds_read2_b64 v[0:3], v0 offset0:28 offset1:190
	ds_read2_b64 v[4:7], v4 offset0:90 offset1:252
	ds_read_b64 v[36:37], v39
	ds_read_b64 v[32:33], v42
	ds_read_b64 v[34:35], v41
	s_movk_i32 s12, 0x1000
	s_and_saveexec_b64 s[4:5], s[2:3]
	s_cbranch_execz .LBB0_27
; %bb.26:
	ds_read_b64 v[26:27], v39 offset:8208
	ds_read_b64 v[24:25], v40
	ds_read_b64 v[28:29], v39 offset:12528
.LBB0_27:
	s_or_b64 exec, exec, s[4:5]
	v_lshlrev_b32_e32 v30, 1, v16
	v_mov_b32_e32 v31, 0
	v_lshl_add_u64 v[44:45], v[30:31], 3, s[8:9]
	v_lshlrev_b32_e32 v30, 1, v18
	v_lshl_add_u64 v[52:53], v[30:31], 3, s[8:9]
	v_lshlrev_b32_e32 v30, 1, v22
	v_add_co_u32_e32 v44, vcc, s12, v44
	v_lshl_add_u64 v[48:49], v[30:31], 3, s[8:9]
	s_nop 0
	v_addc_co_u32_e32 v45, vcc, 0, v45, vcc
	v_add_co_u32_e32 v48, vcc, 0x1000, v48
	global_load_dwordx4 v[44:47], v[44:45], off offset:144
	s_nop 0
	v_addc_co_u32_e32 v49, vcc, 0, v49, vcc
	global_load_dwordx4 v[48:51], v[48:49], off offset:144
	v_add_co_u32_e32 v52, vcc, s12, v52
	s_mov_b32 s4, 0x3f5db3d7
	s_nop 0
	v_addc_co_u32_e32 v53, vcc, 0, v53, vcc
	global_load_dwordx4 v[52:55], v[52:53], off offset:144
	s_waitcnt lgkmcnt(0)
	s_barrier
	s_waitcnt vmcnt(2)
	v_pk_mul_f32 v[56:57], v[44:45], v[0:1] op_sel:[0,1]
	v_pk_mul_f32 v[58:59], v[46:47], v[10:11] op_sel:[0,1]
	v_pk_fma_f32 v[60:61], v[44:45], v[0:1], v[56:57] op_sel:[0,0,1] op_sel_hi:[1,1,0]
	v_pk_fma_f32 v[0:1], v[44:45], v[0:1], v[56:57] op_sel:[0,0,1] op_sel_hi:[1,0,0] neg_lo:[1,0,0] neg_hi:[1,0,0]
	v_pk_fma_f32 v[44:45], v[46:47], v[10:11], v[58:59] op_sel:[0,0,1] op_sel_hi:[1,1,0]
	v_pk_fma_f32 v[10:11], v[46:47], v[10:11], v[58:59] op_sel:[0,0,1] op_sel_hi:[1,0,0] neg_lo:[1,0,0] neg_hi:[1,0,0]
	v_mov_b32_e32 v61, v1
	v_mov_b32_e32 v45, v11
	s_waitcnt vmcnt(1)
	v_pk_mul_f32 v[0:1], v[48:49], v[8:9] op_sel:[0,1]
	v_pk_mul_f32 v[10:11], v[50:51], v[6:7] op_sel:[0,1]
	s_waitcnt vmcnt(0)
	v_pk_mul_f32 v[46:47], v[52:53], v[2:3] op_sel:[0,1]
	v_pk_mul_f32 v[56:57], v[54:55], v[4:5] op_sel:[0,1]
	v_pk_add_f32 v[58:59], v[36:37], v[60:61]
	v_pk_add_f32 v[62:63], v[60:61], v[44:45]
	v_pk_add_f32 v[60:61], v[60:61], v[44:45] neg_lo:[0,1] neg_hi:[0,1]
	v_pk_fma_f32 v[64:65], v[48:49], v[8:9], v[0:1] op_sel:[0,0,1] op_sel_hi:[1,1,0]
	v_pk_fma_f32 v[0:1], v[48:49], v[8:9], v[0:1] op_sel:[0,0,1] op_sel_hi:[1,0,0] neg_lo:[1,0,0] neg_hi:[1,0,0]
	v_pk_fma_f32 v[8:9], v[50:51], v[6:7], v[10:11] op_sel:[0,0,1] op_sel_hi:[1,1,0]
	v_pk_fma_f32 v[6:7], v[50:51], v[6:7], v[10:11] op_sel:[0,0,1] op_sel_hi:[1,0,0] neg_lo:[1,0,0] neg_hi:[1,0,0]
	;; [unrolled: 2-line block ×4, first 2 shown]
	v_pk_fma_f32 v[36:37], v[62:63], 0.5, v[36:37] op_sel_hi:[1,0,1] neg_lo:[1,0,0] neg_hi:[1,0,0]
	v_pk_mul_f32 v[48:49], v[60:61], s[4:5] op_sel_hi:[1,0]
	v_mov_b32_e32 v65, v1
	v_mov_b32_e32 v11, v3
	;; [unrolled: 1-line block ×3, first 2 shown]
	v_pk_add_f32 v[0:1], v[36:37], v[48:49] op_sel:[0,1] op_sel_hi:[1,0] neg_lo:[0,1] neg_hi:[0,1]
	v_pk_add_f32 v[2:3], v[36:37], v[48:49] op_sel:[0,1] op_sel_hi:[1,0]
	v_pk_add_f32 v[44:45], v[58:59], v[44:45]
	v_mov_b32_e32 v9, v7
	v_pk_add_f32 v[6:7], v[32:33], v[10:11]
	v_mov_b32_e32 v36, v0
	v_mov_b32_e32 v37, v3
	;; [unrolled: 1-line block ×3, first 2 shown]
	v_pk_add_f32 v[0:1], v[10:11], v[46:47]
	v_pk_add_f32 v[10:11], v[10:11], v[46:47] neg_lo:[0,1] neg_hi:[0,1]
	ds_write_b64 v39, v[44:45]
	v_pk_add_f32 v[4:5], v[34:35], v[64:65]
	v_pk_add_f32 v[44:45], v[64:65], v[8:9]
	v_pk_add_f32 v[48:49], v[64:65], v[8:9] neg_lo:[0,1] neg_hi:[0,1]
	v_pk_add_f32 v[6:7], v[6:7], v[46:47]
	ds_write_b64 v39, v[36:37] offset:4320
	ds_write_b64 v39, v[2:3] offset:8640
	v_pk_fma_f32 v[0:1], v[0:1], 0.5, v[32:33] op_sel_hi:[1,0,1] neg_lo:[1,0,0] neg_hi:[1,0,0]
	v_pk_mul_f32 v[2:3], v[10:11], s[4:5] op_sel_hi:[1,0]
	v_pk_add_f32 v[4:5], v[4:5], v[8:9]
	v_pk_fma_f32 v[8:9], v[44:45], 0.5, v[34:35] op_sel_hi:[1,0,1] neg_lo:[1,0,0] neg_hi:[1,0,0]
	v_pk_mul_f32 v[10:11], v[48:49], s[4:5] op_sel_hi:[1,0]
	ds_write_b64 v42, v[6:7]
	v_pk_add_f32 v[6:7], v[0:1], v[2:3] op_sel:[0,1] op_sel_hi:[1,0] neg_lo:[0,1] neg_hi:[0,1]
	v_pk_add_f32 v[0:1], v[0:1], v[2:3] op_sel:[0,1] op_sel_hi:[1,0]
	v_pk_add_f32 v[2:3], v[8:9], v[10:11] op_sel:[0,1] op_sel_hi:[1,0] neg_lo:[0,1] neg_hi:[0,1]
	v_pk_add_f32 v[8:9], v[8:9], v[10:11] op_sel:[0,1] op_sel_hi:[1,0]
	v_mov_b32_e32 v10, v6
	v_mov_b32_e32 v11, v1
	;; [unrolled: 1-line block ×6, first 2 shown]
	ds_write_b64 v42, v[10:11] offset:4320
	ds_write_b64 v42, v[0:1] offset:8640
	ds_write_b64 v41, v[4:5]
	ds_write_b64 v41, v[6:7] offset:4320
	ds_write_b64 v41, v[8:9] offset:8640
	s_and_saveexec_b64 s[12:13], s[2:3]
	s_cbranch_execz .LBB0_29
; %bb.28:
	v_subrev_u32_e32 v0, 54, v16
	v_cndmask_b32_e64 v0, v0, v20, s[2:3]
	v_lshlrev_b32_e32 v30, 1, v0
	v_lshl_add_u64 v[0:1], v[30:31], 3, s[8:9]
	v_add_co_u32_e32 v0, vcc, 0x1000, v0
	v_mov_b32_e32 v4, v27
	s_nop 0
	v_addc_co_u32_e32 v1, vcc, 0, v1, vcc
	global_load_dwordx4 v[0:3], v[0:1], off offset:144
	s_waitcnt vmcnt(0)
	v_pk_mul_f32 v[4:5], v[4:5], v[0:1] op_sel_hi:[0,1]
	v_pk_mul_f32 v[6:7], v[28:29], v[2:3] op_sel:[1,0]
	v_pk_fma_f32 v[8:9], v[26:27], v[0:1], v[4:5] op_sel:[0,0,1] op_sel_hi:[1,1,0]
	v_pk_fma_f32 v[0:1], v[26:27], v[0:1], v[4:5] op_sel:[0,0,1] op_sel_hi:[0,1,0] neg_lo:[1,0,0] neg_hi:[1,0,0]
	v_pk_fma_f32 v[4:5], v[28:29], v[2:3], v[6:7] op_sel:[0,0,1] op_sel_hi:[1,1,0]
	v_pk_fma_f32 v[2:3], v[28:29], v[2:3], v[6:7] op_sel:[0,0,1] op_sel_hi:[0,1,0] neg_lo:[1,0,0] neg_hi:[1,0,0]
	v_mov_b32_e32 v9, v1
	v_mov_b32_e32 v5, v3
	v_pk_add_f32 v[0:1], v[24:25], v[8:9]
	v_pk_add_f32 v[2:3], v[8:9], v[4:5]
	v_pk_add_f32 v[6:7], v[8:9], v[4:5] neg_lo:[0,1] neg_hi:[0,1]
	v_pk_add_f32 v[0:1], v[0:1], v[4:5]
	v_pk_fma_f32 v[2:3], -0.5, v[2:3], v[24:25] op_sel_hi:[0,1,1]
	v_pk_mul_f32 v[4:5], v[6:7], s[4:5] op_sel_hi:[1,0]
	ds_write_b64 v39, v[0:1] offset:3888
	v_pk_add_f32 v[0:1], v[2:3], v[4:5] op_sel:[0,1] op_sel_hi:[1,0] neg_lo:[0,1] neg_hi:[0,1]
	v_pk_add_f32 v[2:3], v[2:3], v[4:5] op_sel:[0,1] op_sel_hi:[1,0]
	v_mov_b32_e32 v4, v0
	v_mov_b32_e32 v5, v3
	;; [unrolled: 1-line block ×3, first 2 shown]
	ds_write_b64 v39, v[4:5] offset:8208
	ds_write_b64 v39, v[2:3] offset:12528
.LBB0_29:
	s_or_b64 exec, exec, s[12:13]
	s_waitcnt lgkmcnt(0)
	s_barrier
	ds_read_b64 v[4:5], v39
	s_add_u32 s2, s8, 0x3250
	v_lshlrev_b32_e32 v0, 3, v16
	s_addc_u32 s3, s9, 0
	v_sub_u32_e32 v6, 0, v0
	v_cmp_ne_u32_e32 vcc, 0, v16
                                        ; implicit-def: $vgpr3
                                        ; implicit-def: $vgpr0_vgpr1
	s_and_saveexec_b64 s[4:5], vcc
	s_xor_b64 s[4:5], exec, s[4:5]
	s_cbranch_execz .LBB0_31
; %bb.30:
	v_mov_b32_e32 v17, 0
	v_lshl_add_u64 v[0:1], v[16:17], 3, s[2:3]
	global_load_dwordx2 v[0:1], v[0:1], off
	ds_read_b64 v[2:3], v6 offset:12960
	v_mov_b32_e32 v9, 0.5
	v_mov_b32_e32 v10, v9
	s_waitcnt lgkmcnt(0)
	v_pk_add_f32 v[24:25], v[2:3], v[4:5]
	v_pk_add_f32 v[2:3], v[4:5], v[2:3] neg_lo:[0,1] neg_hi:[0,1]
	v_mov_b32_e32 v4, v25
	v_mov_b32_e32 v5, v2
	v_pk_mul_f32 v[4:5], v[4:5], 0.5 op_sel_hi:[1,0]
	s_waitcnt vmcnt(0)
	v_mov_b32_e32 v8, v1
	v_mov_b32_e32 v2, v5
	;; [unrolled: 1-line block ×4, first 2 shown]
	v_pk_mul_f32 v[2:3], v[8:9], v[2:3]
	v_pk_mul_f32 v[26:27], v[0:1], v[4:5] op_sel_hi:[0,1]
	v_pk_fma_f32 v[8:9], v[24:25], v[10:11], v[2:3]
	v_pk_fma_f32 v[10:11], v[24:25], v[10:11], v[2:3] neg_lo:[0,0,1] neg_hi:[0,0,1]
	v_pk_fma_f32 v[2:3], v[0:1], v[4:5], v[8:9] op_sel_hi:[0,1,1] neg_lo:[1,0,0] neg_hi:[1,0,0]
	v_pk_fma_f32 v[0:1], v[0:1], v[4:5], v[10:11] op_sel_hi:[0,1,1] neg_lo:[1,0,0] neg_hi:[1,0,0]
	v_add_f32_e32 v2, v8, v26
                                        ; implicit-def: $vgpr4_vgpr5
.LBB0_31:
	s_andn2_saveexec_b64 s[4:5], s[4:5]
	s_cbranch_execz .LBB0_33
; %bb.32:
	s_waitcnt lgkmcnt(0)
	v_mov_b32_e32 v0, v5
	v_pk_add_f32 v[0:1], v[4:5], v[0:1] neg_lo:[0,1] neg_hi:[0,1]
	v_add_f32_e32 v2, v5, v4
	v_mov_b32_e32 v1, 0
	ds_read_b32 v3, v1 offset:6484
	s_waitcnt lgkmcnt(0)
	v_xor_b32_e32 v3, 0x80000000, v3
	ds_write_b32 v1, v3 offset:6484
	v_mov_b32_e32 v3, v1
.LBB0_33:
	s_or_b64 exec, exec, s[4:5]
	v_mov_b32_e32 v19, 0
	s_waitcnt lgkmcnt(0)
	v_lshl_add_u64 v[4:5], v[18:19], 3, s[2:3]
	global_load_dwordx2 v[4:5], v[4:5], off
	v_mov_b32_e32 v23, v19
	v_lshl_add_u64 v[8:9], v[22:23], 3, s[2:3]
	global_load_dwordx2 v[8:9], v[8:9], off
	v_mov_b32_e32 v21, v19
	v_lshl_add_u64 v[10:11], v[20:21], 3, s[2:3]
	global_load_dwordx2 v[10:11], v[10:11], off
	v_add_u32_e32 v18, 0x288, v16
	v_lshl_add_u64 v[20:21], v[18:19], 3, s[2:3]
	global_load_dwordx2 v[20:21], v[20:21], off
	ds_write_b64 v39, v[2:3]
	ds_write_b64 v6, v[0:1] offset:12960
	ds_read_b64 v[0:1], v42
	ds_read_b64 v[2:3], v6 offset:11664
	v_mov_b32_e32 v23, 0.5
	v_mov_b32_e32 v24, v23
	s_waitcnt lgkmcnt(0)
	v_pk_add_f32 v[26:27], v[0:1], v[2:3]
	v_pk_add_f32 v[0:1], v[0:1], v[2:3] neg_lo:[0,1] neg_hi:[0,1]
	v_mov_b32_e32 v2, v27
	v_mov_b32_e32 v3, v0
	v_pk_mul_f32 v[2:3], v[2:3], 0.5 op_sel_hi:[1,0]
	s_waitcnt vmcnt(3)
	v_mov_b32_e32 v25, v5
	v_mov_b32_e32 v27, v2
	;; [unrolled: 1-line block ×4, first 2 shown]
	v_pk_mul_f32 v[24:25], v[26:27], v[24:25]
	s_nop 0
	v_pk_fma_f32 v[26:27], v[22:23], v[0:1], v[24:25] neg_lo:[1,0,0] neg_hi:[1,0,0]
	v_pk_fma_f32 v[0:1], v[22:23], v[0:1], v[24:25]
	v_pk_fma_f32 v[24:25], v[4:5], v[2:3], v[26:27] op_sel_hi:[0,1,1] neg_lo:[1,0,0] neg_hi:[1,0,0]
	v_pk_fma_f32 v[26:27], v[4:5], v[2:3], v[0:1] op_sel_hi:[0,1,1]
	v_pk_fma_f32 v[0:1], v[4:5], v[2:3], v[0:1] op_sel_hi:[0,1,1] neg_lo:[1,0,0] neg_hi:[1,0,0]
	v_mov_b32_e32 v27, v1
	ds_write_b64 v42, v[26:27]
	ds_write_b64 v6, v[24:25] offset:11664
	ds_read_b64 v[0:1], v41
	ds_read_b64 v[2:3], v6 offset:10368
	v_mov_b32_e32 v4, v23
	s_waitcnt vmcnt(2)
	v_mov_b32_e32 v5, v9
	v_mov_b32_e32 v22, v9
	s_waitcnt lgkmcnt(0)
	v_pk_add_f32 v[24:25], v[0:1], v[2:3]
	v_pk_add_f32 v[0:1], v[0:1], v[2:3] neg_lo:[0,1] neg_hi:[0,1]
	v_mov_b32_e32 v2, v25
	v_mov_b32_e32 v3, v0
	v_pk_mul_f32 v[2:3], v[2:3], 0.5 op_sel_hi:[1,0]
	s_nop 0
	v_mov_b32_e32 v25, v2
	v_mov_b32_e32 v0, v3
	v_pk_mul_f32 v[4:5], v[24:25], v[4:5]
	s_nop 0
	v_pk_fma_f32 v[24:25], v[22:23], v[0:1], v[4:5] neg_lo:[1,0,0] neg_hi:[1,0,0]
	v_pk_fma_f32 v[0:1], v[22:23], v[0:1], v[4:5]
	v_pk_fma_f32 v[4:5], v[8:9], v[2:3], v[24:25] op_sel_hi:[0,1,1] neg_lo:[1,0,0] neg_hi:[1,0,0]
	v_pk_fma_f32 v[24:25], v[8:9], v[2:3], v[0:1] op_sel_hi:[0,1,1]
	v_pk_fma_f32 v[0:1], v[8:9], v[2:3], v[0:1] op_sel_hi:[0,1,1] neg_lo:[1,0,0] neg_hi:[1,0,0]
	v_mov_b32_e32 v25, v1
	ds_write_b64 v41, v[24:25]
	ds_write_b64 v6, v[4:5] offset:10368
	ds_read_b64 v[0:1], v40
	ds_read_b64 v[2:3], v6 offset:9072
	v_mov_b32_e32 v4, v23
	s_waitcnt vmcnt(1)
	v_mov_b32_e32 v5, v11
	v_mov_b32_e32 v22, v11
	s_waitcnt lgkmcnt(0)
	v_pk_add_f32 v[8:9], v[0:1], v[2:3]
	v_pk_add_f32 v[0:1], v[0:1], v[2:3] neg_lo:[0,1] neg_hi:[0,1]
	v_mov_b32_e32 v2, v9
	v_mov_b32_e32 v3, v0
	v_pk_mul_f32 v[2:3], v[2:3], 0.5 op_sel_hi:[1,0]
	s_nop 0
	v_mov_b32_e32 v9, v2
	v_mov_b32_e32 v0, v3
	v_pk_mul_f32 v[4:5], v[8:9], v[4:5]
	s_nop 0
	v_pk_fma_f32 v[8:9], v[22:23], v[0:1], v[4:5] neg_lo:[1,0,0] neg_hi:[1,0,0]
	v_pk_fma_f32 v[0:1], v[22:23], v[0:1], v[4:5]
	v_pk_fma_f32 v[4:5], v[10:11], v[2:3], v[8:9] op_sel_hi:[0,1,1] neg_lo:[1,0,0] neg_hi:[1,0,0]
	v_pk_fma_f32 v[8:9], v[10:11], v[2:3], v[0:1] op_sel_hi:[0,1,1]
	v_pk_fma_f32 v[0:1], v[10:11], v[2:3], v[0:1] op_sel_hi:[0,1,1] neg_lo:[1,0,0] neg_hi:[1,0,0]
	v_mov_b32_e32 v9, v1
	ds_write_b64 v40, v[8:9]
	ds_write_b64 v6, v[4:5] offset:9072
	ds_read_b64 v[0:1], v39 offset:5184
	ds_read_b64 v[2:3], v6 offset:7776
	v_mov_b32_e32 v4, v23
	s_waitcnt vmcnt(0)
	v_mov_b32_e32 v5, v21
	v_mov_b32_e32 v22, v21
	s_waitcnt lgkmcnt(0)
	v_pk_add_f32 v[8:9], v[0:1], v[2:3]
	v_pk_add_f32 v[0:1], v[0:1], v[2:3] neg_lo:[0,1] neg_hi:[0,1]
	v_mov_b32_e32 v2, v9
	v_mov_b32_e32 v3, v0
	v_pk_mul_f32 v[2:3], v[2:3], 0.5 op_sel_hi:[1,0]
	s_nop 0
	v_mov_b32_e32 v9, v2
	v_mov_b32_e32 v0, v3
	v_pk_mul_f32 v[4:5], v[8:9], v[4:5]
	s_nop 0
	v_pk_fma_f32 v[8:9], v[22:23], v[0:1], v[4:5] neg_lo:[1,0,0] neg_hi:[1,0,0]
	v_pk_fma_f32 v[0:1], v[22:23], v[0:1], v[4:5]
	v_pk_fma_f32 v[4:5], v[20:21], v[2:3], v[8:9] op_sel_hi:[0,1,1] neg_lo:[1,0,0] neg_hi:[1,0,0]
	v_pk_fma_f32 v[8:9], v[20:21], v[2:3], v[0:1] op_sel_hi:[0,1,1]
	v_pk_fma_f32 v[0:1], v[20:21], v[2:3], v[0:1] op_sel_hi:[0,1,1] neg_lo:[1,0,0] neg_hi:[1,0,0]
	v_mov_b32_e32 v9, v1
	ds_write_b64 v39, v[8:9] offset:5184
	ds_write_b64 v6, v[4:5] offset:7776
	s_waitcnt lgkmcnt(0)
	s_barrier
	s_and_saveexec_b64 s[2:3], s[0:1]
	s_cbranch_execz .LBB0_36
; %bb.34:
	v_mul_lo_u32 v2, s11, v14
	v_mul_lo_u32 v3, s10, v15
	v_mad_u64_u32 v[0:1], s[0:1], s10, v14, 0
	v_lshl_add_u32 v10, v16, 3, 0
	v_add3_u32 v1, v1, v3, v2
	ds_read2_b64 v[2:5], v10 offset1:162
	v_lshl_add_u64 v[0:1], v[0:1], 3, s[6:7]
	v_mov_b32_e32 v17, v19
	v_lshl_add_u64 v[0:1], v[12:13], 3, v[0:1]
	v_lshl_add_u64 v[6:7], v[16:17], 3, v[0:1]
	s_waitcnt lgkmcnt(0)
	global_store_dwordx2 v[6:7], v[2:3], off
	v_add_u32_e32 v2, 0x800, v10
	ds_read2_b64 v[6:9], v2 offset0:68 offset1:230
	v_add_u32_e32 v18, 0xa2, v16
	v_lshl_add_u64 v[2:3], v[18:19], 3, v[0:1]
	v_add_u32_e32 v18, 0x144, v16
	global_store_dwordx2 v[2:3], v[4:5], off
	v_lshl_add_u64 v[2:3], v[18:19], 3, v[0:1]
	s_waitcnt lgkmcnt(0)
	global_store_dwordx2 v[2:3], v[6:7], off
	v_add_u32_e32 v2, 0x1400, v10
	ds_read2_b64 v[2:5], v2 offset0:8 offset1:170
	v_add_u32_e32 v18, 0x1e6, v16
	v_lshl_add_u64 v[6:7], v[18:19], 3, v[0:1]
	v_add_u32_e32 v18, 0x288, v16
	global_store_dwordx2 v[6:7], v[8:9], off
	;; [unrolled: 9-line block ×4, first 2 shown]
	v_lshl_add_u64 v[6:7], v[18:19], 3, v[0:1]
	v_add_u32_e32 v18, 0x5b2, v16
	s_movk_i32 s0, 0xa1
	s_waitcnt lgkmcnt(0)
	global_store_dwordx2 v[6:7], v[2:3], off
	v_lshl_add_u64 v[2:3], v[18:19], 3, v[0:1]
	v_cmp_eq_u32_e32 vcc, s0, v16
	global_store_dwordx2 v[2:3], v[4:5], off
	s_and_b64 exec, exec, vcc
	s_cbranch_execz .LBB0_36
; %bb.35:
	v_mov_b32_e32 v2, 0
	ds_read_b64 v[2:3], v2 offset:12960
	v_add_co_u32_e32 v0, vcc, 0x3000, v0
	s_nop 1
	v_addc_co_u32_e32 v1, vcc, 0, v1, vcc
	s_waitcnt lgkmcnt(0)
	global_store_dwordx2 v[0:1], v[2:3], off offset:672
.LBB0_36:
	s_endpgm
	.section	.rodata,"a",@progbits
	.p2align	6, 0x0
	.amdhsa_kernel fft_rtc_back_len1620_factors_10_3_3_6_3_wgs_162_tpt_162_halfLds_sp_op_CI_CI_unitstride_sbrr_R2C_dirReg
		.amdhsa_group_segment_fixed_size 0
		.amdhsa_private_segment_fixed_size 0
		.amdhsa_kernarg_size 104
		.amdhsa_user_sgpr_count 2
		.amdhsa_user_sgpr_dispatch_ptr 0
		.amdhsa_user_sgpr_queue_ptr 0
		.amdhsa_user_sgpr_kernarg_segment_ptr 1
		.amdhsa_user_sgpr_dispatch_id 0
		.amdhsa_user_sgpr_kernarg_preload_length 0
		.amdhsa_user_sgpr_kernarg_preload_offset 0
		.amdhsa_user_sgpr_private_segment_size 0
		.amdhsa_uses_dynamic_stack 0
		.amdhsa_enable_private_segment 0
		.amdhsa_system_sgpr_workgroup_id_x 1
		.amdhsa_system_sgpr_workgroup_id_y 0
		.amdhsa_system_sgpr_workgroup_id_z 0
		.amdhsa_system_sgpr_workgroup_info 0
		.amdhsa_system_vgpr_workitem_id 0
		.amdhsa_next_free_vgpr 70
		.amdhsa_next_free_sgpr 28
		.amdhsa_accum_offset 72
		.amdhsa_reserve_vcc 1
		.amdhsa_float_round_mode_32 0
		.amdhsa_float_round_mode_16_64 0
		.amdhsa_float_denorm_mode_32 3
		.amdhsa_float_denorm_mode_16_64 3
		.amdhsa_dx10_clamp 1
		.amdhsa_ieee_mode 1
		.amdhsa_fp16_overflow 0
		.amdhsa_tg_split 0
		.amdhsa_exception_fp_ieee_invalid_op 0
		.amdhsa_exception_fp_denorm_src 0
		.amdhsa_exception_fp_ieee_div_zero 0
		.amdhsa_exception_fp_ieee_overflow 0
		.amdhsa_exception_fp_ieee_underflow 0
		.amdhsa_exception_fp_ieee_inexact 0
		.amdhsa_exception_int_div_zero 0
	.end_amdhsa_kernel
	.text
.Lfunc_end0:
	.size	fft_rtc_back_len1620_factors_10_3_3_6_3_wgs_162_tpt_162_halfLds_sp_op_CI_CI_unitstride_sbrr_R2C_dirReg, .Lfunc_end0-fft_rtc_back_len1620_factors_10_3_3_6_3_wgs_162_tpt_162_halfLds_sp_op_CI_CI_unitstride_sbrr_R2C_dirReg
                                        ; -- End function
	.section	.AMDGPU.csdata,"",@progbits
; Kernel info:
; codeLenInByte = 8380
; NumSgprs: 34
; NumVgprs: 70
; NumAgprs: 0
; TotalNumVgprs: 70
; ScratchSize: 0
; MemoryBound: 0
; FloatMode: 240
; IeeeMode: 1
; LDSByteSize: 0 bytes/workgroup (compile time only)
; SGPRBlocks: 4
; VGPRBlocks: 8
; NumSGPRsForWavesPerEU: 34
; NumVGPRsForWavesPerEU: 70
; AccumOffset: 72
; Occupancy: 7
; WaveLimiterHint : 1
; COMPUTE_PGM_RSRC2:SCRATCH_EN: 0
; COMPUTE_PGM_RSRC2:USER_SGPR: 2
; COMPUTE_PGM_RSRC2:TRAP_HANDLER: 0
; COMPUTE_PGM_RSRC2:TGID_X_EN: 1
; COMPUTE_PGM_RSRC2:TGID_Y_EN: 0
; COMPUTE_PGM_RSRC2:TGID_Z_EN: 0
; COMPUTE_PGM_RSRC2:TIDIG_COMP_CNT: 0
; COMPUTE_PGM_RSRC3_GFX90A:ACCUM_OFFSET: 17
; COMPUTE_PGM_RSRC3_GFX90A:TG_SPLIT: 0
	.text
	.p2alignl 6, 3212836864
	.fill 256, 4, 3212836864
	.type	__hip_cuid_a625dcce3e9c0b2e,@object ; @__hip_cuid_a625dcce3e9c0b2e
	.section	.bss,"aw",@nobits
	.globl	__hip_cuid_a625dcce3e9c0b2e
__hip_cuid_a625dcce3e9c0b2e:
	.byte	0                               ; 0x0
	.size	__hip_cuid_a625dcce3e9c0b2e, 1

	.ident	"AMD clang version 19.0.0git (https://github.com/RadeonOpenCompute/llvm-project roc-6.4.0 25133 c7fe45cf4b819c5991fe208aaa96edf142730f1d)"
	.section	".note.GNU-stack","",@progbits
	.addrsig
	.addrsig_sym __hip_cuid_a625dcce3e9c0b2e
	.amdgpu_metadata
---
amdhsa.kernels:
  - .agpr_count:     0
    .args:
      - .actual_access:  read_only
        .address_space:  global
        .offset:         0
        .size:           8
        .value_kind:     global_buffer
      - .offset:         8
        .size:           8
        .value_kind:     by_value
      - .actual_access:  read_only
        .address_space:  global
        .offset:         16
        .size:           8
        .value_kind:     global_buffer
      - .actual_access:  read_only
        .address_space:  global
        .offset:         24
        .size:           8
        .value_kind:     global_buffer
      - .actual_access:  read_only
        .address_space:  global
        .offset:         32
        .size:           8
        .value_kind:     global_buffer
      - .offset:         40
        .size:           8
        .value_kind:     by_value
      - .actual_access:  read_only
        .address_space:  global
        .offset:         48
        .size:           8
        .value_kind:     global_buffer
      - .actual_access:  read_only
        .address_space:  global
        .offset:         56
        .size:           8
        .value_kind:     global_buffer
      - .offset:         64
        .size:           4
        .value_kind:     by_value
      - .actual_access:  read_only
        .address_space:  global
        .offset:         72
        .size:           8
        .value_kind:     global_buffer
      - .actual_access:  read_only
        .address_space:  global
        .offset:         80
        .size:           8
        .value_kind:     global_buffer
      - .actual_access:  read_only
        .address_space:  global
        .offset:         88
        .size:           8
        .value_kind:     global_buffer
      - .actual_access:  write_only
        .address_space:  global
        .offset:         96
        .size:           8
        .value_kind:     global_buffer
    .group_segment_fixed_size: 0
    .kernarg_segment_align: 8
    .kernarg_segment_size: 104
    .language:       OpenCL C
    .language_version:
      - 2
      - 0
    .max_flat_workgroup_size: 162
    .name:           fft_rtc_back_len1620_factors_10_3_3_6_3_wgs_162_tpt_162_halfLds_sp_op_CI_CI_unitstride_sbrr_R2C_dirReg
    .private_segment_fixed_size: 0
    .sgpr_count:     34
    .sgpr_spill_count: 0
    .symbol:         fft_rtc_back_len1620_factors_10_3_3_6_3_wgs_162_tpt_162_halfLds_sp_op_CI_CI_unitstride_sbrr_R2C_dirReg.kd
    .uniform_work_group_size: 1
    .uses_dynamic_stack: false
    .vgpr_count:     70
    .vgpr_spill_count: 0
    .wavefront_size: 64
amdhsa.target:   amdgcn-amd-amdhsa--gfx950
amdhsa.version:
  - 1
  - 2
...

	.end_amdgpu_metadata
